;; amdgpu-corpus repo=ROCm/composable_kernel kind=compiled arch=gfx950 opt=O3
	.amdgcn_target "amdgcn-amd-amdhsa--gfx950"
	.amdhsa_code_object_version 6
	.section	.text._ZN2ckL12flush_icacheEv,"axG",@progbits,_ZN2ckL12flush_icacheEv,comdat
	.globl	_ZN2ckL12flush_icacheEv         ; -- Begin function _ZN2ckL12flush_icacheEv
	.p2align	8
	.type	_ZN2ckL12flush_icacheEv,@function
_ZN2ckL12flush_icacheEv:                ; @_ZN2ckL12flush_icacheEv
; %bb.0:
	;;#ASMSTART
	s_icache_inv 
	s_nop 0 
	s_nop 0 
	;; [unrolled: 1-line block ×16, first 2 shown]
	
	;;#ASMEND
	s_endpgm
	.section	.rodata,"a",@progbits
	.p2align	6, 0x0
	.amdhsa_kernel _ZN2ckL12flush_icacheEv
		.amdhsa_group_segment_fixed_size 0
		.amdhsa_private_segment_fixed_size 0
		.amdhsa_kernarg_size 0
		.amdhsa_user_sgpr_count 0
		.amdhsa_user_sgpr_dispatch_ptr 0
		.amdhsa_user_sgpr_queue_ptr 0
		.amdhsa_user_sgpr_kernarg_segment_ptr 0
		.amdhsa_user_sgpr_dispatch_id 0
		.amdhsa_user_sgpr_kernarg_preload_length 0
		.amdhsa_user_sgpr_kernarg_preload_offset 0
		.amdhsa_user_sgpr_private_segment_size 0
		.amdhsa_uses_dynamic_stack 0
		.amdhsa_enable_private_segment 0
		.amdhsa_system_sgpr_workgroup_id_x 1
		.amdhsa_system_sgpr_workgroup_id_y 0
		.amdhsa_system_sgpr_workgroup_id_z 0
		.amdhsa_system_sgpr_workgroup_info 0
		.amdhsa_system_vgpr_workitem_id 0
		.amdhsa_next_free_vgpr 1
		.amdhsa_next_free_sgpr 0
		.amdhsa_accum_offset 4
		.amdhsa_reserve_vcc 0
		.amdhsa_float_round_mode_32 0
		.amdhsa_float_round_mode_16_64 0
		.amdhsa_float_denorm_mode_32 3
		.amdhsa_float_denorm_mode_16_64 3
		.amdhsa_dx10_clamp 1
		.amdhsa_ieee_mode 1
		.amdhsa_fp16_overflow 0
		.amdhsa_tg_split 0
		.amdhsa_exception_fp_ieee_invalid_op 0
		.amdhsa_exception_fp_denorm_src 0
		.amdhsa_exception_fp_ieee_div_zero 0
		.amdhsa_exception_fp_ieee_overflow 0
		.amdhsa_exception_fp_ieee_underflow 0
		.amdhsa_exception_fp_ieee_inexact 0
		.amdhsa_exception_int_div_zero 0
	.end_amdhsa_kernel
	.section	.text._ZN2ckL12flush_icacheEv,"axG",@progbits,_ZN2ckL12flush_icacheEv,comdat
.Lfunc_end0:
	.size	_ZN2ckL12flush_icacheEv, .Lfunc_end0-_ZN2ckL12flush_icacheEv
                                        ; -- End function
	.set _ZN2ckL12flush_icacheEv.num_vgpr, 0
	.set _ZN2ckL12flush_icacheEv.num_agpr, 0
	.set _ZN2ckL12flush_icacheEv.numbered_sgpr, 0
	.set _ZN2ckL12flush_icacheEv.num_named_barrier, 0
	.set _ZN2ckL12flush_icacheEv.private_seg_size, 0
	.set _ZN2ckL12flush_icacheEv.uses_vcc, 0
	.set _ZN2ckL12flush_icacheEv.uses_flat_scratch, 0
	.set _ZN2ckL12flush_icacheEv.has_dyn_sized_stack, 0
	.set _ZN2ckL12flush_icacheEv.has_recursion, 0
	.set _ZN2ckL12flush_icacheEv.has_indirect_call, 0
	.section	.AMDGPU.csdata,"",@progbits
; Kernel info:
; codeLenInByte = 276
; TotalNumSgprs: 6
; NumVgprs: 0
; NumAgprs: 0
; TotalNumVgprs: 0
; ScratchSize: 0
; MemoryBound: 0
; FloatMode: 240
; IeeeMode: 1
; LDSByteSize: 0 bytes/workgroup (compile time only)
; SGPRBlocks: 0
; VGPRBlocks: 0
; NumSGPRsForWavesPerEU: 6
; NumVGPRsForWavesPerEU: 1
; AccumOffset: 4
; Occupancy: 8
; WaveLimiterHint : 0
; COMPUTE_PGM_RSRC2:SCRATCH_EN: 0
; COMPUTE_PGM_RSRC2:USER_SGPR: 0
; COMPUTE_PGM_RSRC2:TRAP_HANDLER: 0
; COMPUTE_PGM_RSRC2:TGID_X_EN: 1
; COMPUTE_PGM_RSRC2:TGID_Y_EN: 0
; COMPUTE_PGM_RSRC2:TGID_Z_EN: 0
; COMPUTE_PGM_RSRC2:TIDIG_COMP_CNT: 0
; COMPUTE_PGM_RSRC3_GFX90A:ACCUM_OFFSET: 0
; COMPUTE_PGM_RSRC3_GFX90A:TG_SPLIT: 0
	.section	.text._ZN2ck27kernel_gemm_xdl_cshuffle_v3INS_28GridwiseGemm_xdl_cshuffle_v3INS_13tensor_layout4gemm8RowMajorENS3_11ColumnMajorES4_DF16_DF16_fDF16_DF16_NS_16tensor_operation12element_wise11PassThroughES8_S8_LNS6_6device18GemmSpecializationE4ELi64ELi32ELi32ELi256ELi8ELi8ELi16ELi16ELi2ELi2ENS_8SequenceIJLi32ELi2ELi1EEEENSB_IJLi1ELi0ELi2EEEESD_Li2ELi8ELi8ELb0ELi0ESC_SD_SD_Li2ELi8ELi8ELb0ELi0ELi1ELi1ENSB_IJLi1ELi16ELi1ELi4EEEELi4ELNS_26BlockGemmPipelineSchedulerE1ELNS_24BlockGemmPipelineVersionE1EDF16_DF16_Lb0ELb0ELb0ELi0ELb0EEELb1ELNS_25InMemoryDataOperationEnumE1ELi2ELNS_10TailNumberE2EEEvNT_8ArgumentE,"axG",@progbits,_ZN2ck27kernel_gemm_xdl_cshuffle_v3INS_28GridwiseGemm_xdl_cshuffle_v3INS_13tensor_layout4gemm8RowMajorENS3_11ColumnMajorES4_DF16_DF16_fDF16_DF16_NS_16tensor_operation12element_wise11PassThroughES8_S8_LNS6_6device18GemmSpecializationE4ELi64ELi32ELi32ELi256ELi8ELi8ELi16ELi16ELi2ELi2ENS_8SequenceIJLi32ELi2ELi1EEEENSB_IJLi1ELi0ELi2EEEESD_Li2ELi8ELi8ELb0ELi0ESC_SD_SD_Li2ELi8ELi8ELb0ELi0ELi1ELi1ENSB_IJLi1ELi16ELi1ELi4EEEELi4ELNS_26BlockGemmPipelineSchedulerE1ELNS_24BlockGemmPipelineVersionE1EDF16_DF16_Lb0ELb0ELb0ELi0ELb0EEELb1ELNS_25InMemoryDataOperationEnumE1ELi2ELNS_10TailNumberE2EEEvNT_8ArgumentE,comdat
	.protected	_ZN2ck27kernel_gemm_xdl_cshuffle_v3INS_28GridwiseGemm_xdl_cshuffle_v3INS_13tensor_layout4gemm8RowMajorENS3_11ColumnMajorES4_DF16_DF16_fDF16_DF16_NS_16tensor_operation12element_wise11PassThroughES8_S8_LNS6_6device18GemmSpecializationE4ELi64ELi32ELi32ELi256ELi8ELi8ELi16ELi16ELi2ELi2ENS_8SequenceIJLi32ELi2ELi1EEEENSB_IJLi1ELi0ELi2EEEESD_Li2ELi8ELi8ELb0ELi0ESC_SD_SD_Li2ELi8ELi8ELb0ELi0ELi1ELi1ENSB_IJLi1ELi16ELi1ELi4EEEELi4ELNS_26BlockGemmPipelineSchedulerE1ELNS_24BlockGemmPipelineVersionE1EDF16_DF16_Lb0ELb0ELb0ELi0ELb0EEELb1ELNS_25InMemoryDataOperationEnumE1ELi2ELNS_10TailNumberE2EEEvNT_8ArgumentE ; -- Begin function _ZN2ck27kernel_gemm_xdl_cshuffle_v3INS_28GridwiseGemm_xdl_cshuffle_v3INS_13tensor_layout4gemm8RowMajorENS3_11ColumnMajorES4_DF16_DF16_fDF16_DF16_NS_16tensor_operation12element_wise11PassThroughES8_S8_LNS6_6device18GemmSpecializationE4ELi64ELi32ELi32ELi256ELi8ELi8ELi16ELi16ELi2ELi2ENS_8SequenceIJLi32ELi2ELi1EEEENSB_IJLi1ELi0ELi2EEEESD_Li2ELi8ELi8ELb0ELi0ESC_SD_SD_Li2ELi8ELi8ELb0ELi0ELi1ELi1ENSB_IJLi1ELi16ELi1ELi4EEEELi4ELNS_26BlockGemmPipelineSchedulerE1ELNS_24BlockGemmPipelineVersionE1EDF16_DF16_Lb0ELb0ELb0ELi0ELb0EEELb1ELNS_25InMemoryDataOperationEnumE1ELi2ELNS_10TailNumberE2EEEvNT_8ArgumentE
	.globl	_ZN2ck27kernel_gemm_xdl_cshuffle_v3INS_28GridwiseGemm_xdl_cshuffle_v3INS_13tensor_layout4gemm8RowMajorENS3_11ColumnMajorES4_DF16_DF16_fDF16_DF16_NS_16tensor_operation12element_wise11PassThroughES8_S8_LNS6_6device18GemmSpecializationE4ELi64ELi32ELi32ELi256ELi8ELi8ELi16ELi16ELi2ELi2ENS_8SequenceIJLi32ELi2ELi1EEEENSB_IJLi1ELi0ELi2EEEESD_Li2ELi8ELi8ELb0ELi0ESC_SD_SD_Li2ELi8ELi8ELb0ELi0ELi1ELi1ENSB_IJLi1ELi16ELi1ELi4EEEELi4ELNS_26BlockGemmPipelineSchedulerE1ELNS_24BlockGemmPipelineVersionE1EDF16_DF16_Lb0ELb0ELb0ELi0ELb0EEELb1ELNS_25InMemoryDataOperationEnumE1ELi2ELNS_10TailNumberE2EEEvNT_8ArgumentE
	.p2align	8
	.type	_ZN2ck27kernel_gemm_xdl_cshuffle_v3INS_28GridwiseGemm_xdl_cshuffle_v3INS_13tensor_layout4gemm8RowMajorENS3_11ColumnMajorES4_DF16_DF16_fDF16_DF16_NS_16tensor_operation12element_wise11PassThroughES8_S8_LNS6_6device18GemmSpecializationE4ELi64ELi32ELi32ELi256ELi8ELi8ELi16ELi16ELi2ELi2ENS_8SequenceIJLi32ELi2ELi1EEEENSB_IJLi1ELi0ELi2EEEESD_Li2ELi8ELi8ELb0ELi0ESC_SD_SD_Li2ELi8ELi8ELb0ELi0ELi1ELi1ENSB_IJLi1ELi16ELi1ELi4EEEELi4ELNS_26BlockGemmPipelineSchedulerE1ELNS_24BlockGemmPipelineVersionE1EDF16_DF16_Lb0ELb0ELb0ELi0ELb0EEELb1ELNS_25InMemoryDataOperationEnumE1ELi2ELNS_10TailNumberE2EEEvNT_8ArgumentE,@function
_ZN2ck27kernel_gemm_xdl_cshuffle_v3INS_28GridwiseGemm_xdl_cshuffle_v3INS_13tensor_layout4gemm8RowMajorENS3_11ColumnMajorES4_DF16_DF16_fDF16_DF16_NS_16tensor_operation12element_wise11PassThroughES8_S8_LNS6_6device18GemmSpecializationE4ELi64ELi32ELi32ELi256ELi8ELi8ELi16ELi16ELi2ELi2ENS_8SequenceIJLi32ELi2ELi1EEEENSB_IJLi1ELi0ELi2EEEESD_Li2ELi8ELi8ELb0ELi0ESC_SD_SD_Li2ELi8ELi8ELb0ELi0ELi1ELi1ENSB_IJLi1ELi16ELi1ELi4EEEELi4ELNS_26BlockGemmPipelineSchedulerE1ELNS_24BlockGemmPipelineVersionE1EDF16_DF16_Lb0ELb0ELb0ELi0ELb0EEELb1ELNS_25InMemoryDataOperationEnumE1ELi2ELNS_10TailNumberE2EEEvNT_8ArgumentE: ; @_ZN2ck27kernel_gemm_xdl_cshuffle_v3INS_28GridwiseGemm_xdl_cshuffle_v3INS_13tensor_layout4gemm8RowMajorENS3_11ColumnMajorES4_DF16_DF16_fDF16_DF16_NS_16tensor_operation12element_wise11PassThroughES8_S8_LNS6_6device18GemmSpecializationE4ELi64ELi32ELi32ELi256ELi8ELi8ELi16ELi16ELi2ELi2ENS_8SequenceIJLi32ELi2ELi1EEEENSB_IJLi1ELi0ELi2EEEESD_Li2ELi8ELi8ELb0ELi0ESC_SD_SD_Li2ELi8ELi8ELb0ELi0ELi1ELi1ENSB_IJLi1ELi16ELi1ELi4EEEELi4ELNS_26BlockGemmPipelineSchedulerE1ELNS_24BlockGemmPipelineVersionE1EDF16_DF16_Lb0ELb0ELb0ELi0ELb0EEELb1ELNS_25InMemoryDataOperationEnumE1ELi2ELNS_10TailNumberE2EEEvNT_8ArgumentE
; %bb.0:
	s_load_dwordx8 s[64:71], s[0:1], 0x10
	s_load_dwordx2 s[84:85], s[0:1], 0x60
	s_load_dword s9, s[0:1], 0x68
	s_load_dword s8, s[0:1], 0x3c
	s_load_dwordx4 s[4:7], s[0:1], 0x50
	s_waitcnt lgkmcnt(0)
	s_cmp_gt_i32 s70, 1
	s_cselect_b64 s[10:11], -1, 0
	s_bitcmp1_b32 s9, 0
	s_cselect_b64 s[12:13], -1, 0
	s_and_b64 s[10:11], s[10:11], s[12:13]
	v_mov_b32_e32 v164, v0
	s_andn2_b64 vcc, exec, s[10:11]
	s_mov_b64 s[86:87], 0
	s_cbranch_vccnz .LBB1_2
; %bb.1:
	s_mul_i32 s9, s64, s3
	s_mul_i32 s86, s9, s65
	s_ashr_i32 s87, s86, 31
.LBB1_2:
	s_load_dword s9, s[0:1], 0x34
	s_add_i32 s33, s64, -1
	s_cmp_lt_u32 s33, 32
	s_mov_b32 s71, 0
	s_cbranch_scc1 .LBB1_6
; %bb.3:
	s_add_i32 s0, s65, -1
	s_cmp_lt_u32 s0, 32
	s_mov_b32 s0, 0
	s_cbranch_scc1 .LBB1_10
; %bb.4:
	s_add_i32 s0, s64, 31
	s_ashr_i32 s1, s0, 31
	s_lshr_b32 s1, s1, 27
	s_add_i32 s0, s0, s1
	s_ashr_i32 s11, s0, 5
	s_add_i32 s0, s65, 31
	s_ashr_i32 s1, s0, 31
	s_lshr_b32 s1, s1, 27
	s_add_i32 s0, s0, s1
	s_ashr_i32 s10, s0, 5
	s_mul_i32 s0, s10, s11
	s_add_i32 s1, s0, 7
	s_ashr_i32 s12, s1, 31
	s_lshr_b32 s12, s12, 29
	s_add_i32 s1, s1, s12
	s_ashr_i32 s12, s1, 3
	s_and_b32 s1, s1, -8
	s_sub_i32 s13, s0, s1
	s_ashr_i32 s0, s2, 31
	s_lshr_b32 s0, s0, 29
	s_add_i32 s15, s2, s0
	s_and_b32 s0, s15, -8
	s_add_i32 s13, s13, 8
	s_sub_i32 s14, s2, s0
	s_cmp_gt_i32 s14, s13
	s_cbranch_scc1 .LBB1_7
; %bb.5:
	s_mul_i32 s2, s12, s14
	s_ashr_i32 s0, s15, 3
	s_cbranch_execz .LBB1_8
	s_branch .LBB1_9
.LBB1_6:
	s_mov_b32 s88, 0
	s_branch .LBB1_11
.LBB1_7:
                                        ; implicit-def: $sgpr2
	s_ashr_i32 s0, s15, 3
.LBB1_8:
	s_add_i32 s1, s12, -1
	s_mul_i32 s1, s1, s14
	s_add_i32 s2, s13, s1
.LBB1_9:
	s_abs_i32 s1, s10
	v_cvt_f32_u32_e32 v0, s1
	s_sub_i32 s13, 0, s1
	s_add_i32 s0, s2, s0
	s_abs_i32 s12, s0
	v_rcp_iflag_f32_e32 v0, v0
	s_xor_b32 s2, s0, s10
	s_ashr_i32 s2, s2, 31
	v_mul_f32_e32 v0, 0x4f7ffffe, v0
	v_cvt_u32_f32_e32 v0, v0
	s_nop 0
	v_readfirstlane_b32 s14, v0
	s_mul_i32 s13, s13, s14
	s_mul_hi_u32 s13, s14, s13
	s_add_i32 s14, s14, s13
	s_mul_hi_u32 s13, s12, s14
	s_mul_i32 s14, s13, s1
	s_sub_i32 s12, s12, s14
	s_add_i32 s15, s13, 1
	s_sub_i32 s14, s12, s1
	s_cmp_ge_u32 s12, s1
	s_cselect_b32 s13, s15, s13
	s_cselect_b32 s12, s14, s12
	s_add_i32 s14, s13, 1
	s_cmp_ge_u32 s12, s1
	s_cselect_b32 s1, s14, s13
	s_xor_b32 s1, s1, s2
	s_lshr_b32 s12, s11, 30
	s_sub_i32 s1, s1, s2
	s_add_i32 s12, s11, s12
	s_mul_i32 s2, s1, s10
	s_sub_i32 s0, s0, s2
	s_and_b32 s2, s12, -4
	s_sub_i32 s11, s11, s2
	s_cmp_ge_i32 s1, s2
	s_cselect_b32 s2, s11, 4
	s_abs_i32 s12, s2
	v_cvt_f32_u32_e32 v0, s12
	s_ashr_i32 s11, s1, 31
	s_lshr_b32 s11, s11, 30
	s_add_i32 s11, s1, s11
	v_rcp_iflag_f32_e32 v0, v0
	s_and_b32 s11, s11, -4
	s_sub_i32 s11, s1, s11
	s_sub_i32 s14, 0, s12
	v_mul_f32_e32 v0, 0x4f7ffffe, v0
	v_cvt_u32_f32_e32 v0, v0
	s_mul_i32 s10, s11, s10
	s_add_i32 s10, s10, s0
	s_abs_i32 s13, s10
	v_readfirstlane_b32 s15, v0
	s_mul_i32 s14, s14, s15
	s_mul_hi_u32 s14, s15, s14
	s_add_i32 s15, s15, s14
	s_mul_hi_u32 s14, s13, s15
	s_mul_i32 s15, s14, s12
	s_xor_b32 s0, s10, s2
	s_sub_i32 s13, s13, s15
	s_ashr_i32 s0, s0, 31
	s_add_i32 s15, s14, 1
	s_sub_i32 s16, s13, s12
	s_cmp_ge_u32 s13, s12
	s_cselect_b32 s14, s15, s14
	s_cselect_b32 s13, s16, s13
	s_add_i32 s15, s14, 1
	s_cmp_ge_u32 s13, s12
	s_cselect_b32 s12, s15, s14
	s_xor_b32 s12, s12, s0
	s_sub_i32 s0, s12, s0
	s_mul_i32 s2, s0, s2
	s_sub_i32 s2, s10, s2
	s_add_i32 s2, s2, s1
	s_sub_i32 s2, s2, s11
.LBB1_10:
	s_mov_b32 s88, s2
	s_mov_b32 s2, s0
.LBB1_11:
	s_waitcnt lgkmcnt(0)
	s_mul_i32 s0, s9, s3
	s_ashr_i32 s1, s0, 31
	s_lshl_b64 s[0:1], s[0:1], 1
	s_add_u32 s72, s4, s0
	s_addc_u32 s4, s5, s1
	s_add_u32 s80, s6, s0
	s_addc_u32 s5, s7, s1
	s_add_i32 s0, s65, 0x7fffffff
	s_mul_i32 s7, s0, s68
	s_add_i32 s0, s70, -1
	s_mul_i32 s1, s0, s9
	s_sub_i32 s1, s66, s1
	v_lshrrev_b32_e32 v130, 1, v164
	s_cmp_lt_u32 s3, s0
	v_and_b32_e32 v183, 31, v164
	v_and_b32_e32 v185, 16, v130
	s_cselect_b32 s3, s9, s1
	s_lshl_b32 s66, s2, 5
	v_lshl_or_b32 v131, s88, 5, v185
	v_lshlrev_b32_e32 v0, 3, v183
	v_mad_u64_u32 v[2:3], s[0:1], v131, s67, v[0:1]
	v_bitop3_b32 v187, v130, v183, 16 bitop3:0x6c
	v_lshlrev_b32_e32 v1, 8, v185
	v_or_b32_e32 v133, s66, v185
	v_lshl_or_b32 v132, v187, 3, v1
	v_mad_u64_u32 v[0:1], s[0:1], v133, s68, v[0:1]
	s_ashr_i32 s0, s8, 31
	s_mul_i32 s6, s33, s67
	v_lshlrev_b32_e32 v1, 2, v164
	s_lshr_b32 s0, s0, 27
	scratch_store_dword off, v1, off offset:484 ; 4-byte Folded Spill
	v_and_b32_e32 v1, 0xc0, v1
	s_add_i32 s8, s8, s0
	s_add_i32 s0, s3, s6
	scratch_store_dword off, v1, off offset:480 ; 4-byte Folded Spill
	v_lshrrev_b32_e32 v179, 3, v1
	s_lshl_b32 s74, s0, 1
	s_and_b32 s73, s4, 0xffff
	s_mov_b32 s75, 0x20000
	v_lshlrev_b32_e32 v1, 1, v2
	v_add_u32_e32 v2, s67, v2
	v_lshlrev_b32_e32 v3, 1, v2
	buffer_load_dwordx4 v[66:69], v1, s[72:75], 0 offen
	buffer_load_dwordx4 v[70:73], v3, s[72:75], 0 offen
	v_add_u32_e32 v2, s67, v2
	v_lshlrev_b32_e32 v3, 1, v2
	v_add_u32_e32 v2, s67, v2
	v_lshlrev_b32_e32 v4, 1, v2
	v_add_u32_e32 v2, s67, v2
	buffer_load_dwordx4 v[74:77], v3, s[72:75], 0 offen
	buffer_load_dwordx4 v[78:81], v4, s[72:75], 0 offen
	v_lshlrev_b32_e32 v3, 1, v2
	v_add_u32_e32 v2, s67, v2
	v_lshlrev_b32_e32 v4, 1, v2
	buffer_load_dwordx4 v[82:85], v3, s[72:75], 0 offen
	buffer_load_dwordx4 v[86:89], v4, s[72:75], 0 offen
	v_add_u32_e32 v2, s67, v2
	v_lshlrev_b32_e32 v3, 1, v2
	v_add_u32_e32 v2, s67, v2
	v_lshlrev_b32_e32 v4, 1, v2
	v_add_u32_e32 v2, s67, v2
	buffer_load_dwordx4 v[90:93], v3, s[72:75], 0 offen
	buffer_load_dwordx4 v[94:97], v4, s[72:75], 0 offen
	v_lshlrev_b32_e32 v3, 1, v2
	v_add_u32_e32 v2, s67, v2
	v_lshlrev_b32_e32 v4, 1, v2
	v_add_u32_e32 v2, s67, v2
	buffer_load_dwordx4 v[98:101], v3, s[72:75], 0 offen
	buffer_load_dwordx4 v[102:105], v4, s[72:75], 0 offen
	v_lshlrev_b32_e32 v3, 1, v2
	v_add_u32_e32 v2, s67, v2
	v_lshlrev_b32_e32 v4, 1, v2
	v_add_u32_e32 v2, s67, v2
	buffer_load_dwordx4 v[106:109], v3, s[72:75], 0 offen
	buffer_load_dwordx4 v[110:113], v4, s[72:75], 0 offen
	v_lshlrev_b32_e32 v3, 1, v2
	v_add_u32_e32 v2, s67, v2
	v_lshlrev_b32_e32 v4, 1, v2
	v_add_u32_e32 v2, s67, v2
	v_add_u32_e32 v148, s67, v2
	buffer_load_dwordx4 v[114:117], v3, s[72:75], 0 offen
	buffer_load_dwordx4 v[118:121], v4, s[72:75], 0 offen
	v_lshlrev_b32_e32 v3, 1, v2
	v_lshlrev_b32_e32 v2, 1, v148
	buffer_load_dwordx4 v[122:125], v3, s[72:75], 0 offen
	buffer_load_dwordx4 v[126:129], v2, s[72:75], 0 offen
	s_add_i32 s3, s3, s7
	v_lshlrev_b32_e32 v2, 1, v0
	v_add_u32_e32 v0, s68, v0
	s_lshl_b32 s82, s3, 1
	s_and_b32 s81, s5, 0xffff
	s_mov_b32 s83, s75
	v_lshlrev_b32_e32 v3, 1, v0
	v_add_u32_e32 v0, s68, v0
	buffer_load_dwordx4 v[62:65], v2, s[80:83], 0 offen
	buffer_load_dwordx4 v[54:57], v3, s[80:83], 0 offen
	v_lshlrev_b32_e32 v2, 1, v0
	v_add_u32_e32 v0, s68, v0
	v_lshlrev_b32_e32 v3, 1, v0
	v_add_u32_e32 v0, s68, v0
	buffer_load_dwordx4 v[58:61], v2, s[80:83], 0 offen
	buffer_load_dwordx4 v[46:49], v3, s[80:83], 0 offen
	v_lshlrev_b32_e32 v2, 1, v0
	v_add_u32_e32 v0, s68, v0
	;; [unrolled: 6-line block ×7, first 2 shown]
	v_lshlrev_b32_e32 v3, 1, v0
	buffer_load_dwordx4 v[10:13], v2, s[80:83], 0 offen
	s_nop 0
	buffer_load_dwordx4 v[2:5], v3, s[80:83], 0 offen
	v_or_b32_e32 v1, 2, v131
	v_cmp_gt_i32_e32 vcc, s64, v131
	v_cmp_gt_i32_e64 s[2:3], s64, v1
	v_lshlrev_b32_e32 v1, 1, v132
	s_waitcnt vmcnt(31)
	v_cndmask_b32_e32 v69, 0, v69, vcc
	v_cndmask_b32_e32 v68, 0, v68, vcc
	v_cndmask_b32_e32 v67, 0, v67, vcc
	v_cndmask_b32_e32 v66, 0, v66, vcc
	ds_write_b128 v1, v[66:69]
	v_bitop3_b32 v66, v185, v183, 1 bitop3:0x36
	v_bitop3_b32 v68, v185, v183, 2 bitop3:0x36
	v_sub_u32_e32 v67, v66, v187
	v_sub_u32_e32 v66, v68, v66
	v_or_b32_e32 v134, 1, v131
	v_lshlrev_b32_e32 v69, 3, v66
	v_cmp_gt_i32_e64 s[0:1], s64, v134
	scratch_store_dword off, v69, off offset:352 ; 4-byte Folded Spill
	v_add_u32_e32 v134, 0x100, v69
	v_bitop3_b32 v69, v185, v183, 3 bitop3:0x36
	v_or_b32_e32 v135, 3, v131
	v_or_b32_e32 v136, 4, v131
	;; [unrolled: 1-line block ×13, first 2 shown]
	s_waitcnt vmcnt(31)
	v_cndmask_b32_e64 v73, 0, v73, s[0:1]
	v_cndmask_b32_e64 v72, 0, v72, s[0:1]
	;; [unrolled: 1-line block ×4, first 2 shown]
	v_lshlrev_b32_e32 v131, 3, v67
	v_lshl_add_u32 v67, v67, 4, v1
	v_sub_u32_e32 v68, v69, v68
	ds_write_b128 v67, v[70:73] offset:512
	v_lshlrev_b32_e32 v70, 3, v68
	v_cmp_gt_i32_e64 s[4:5], s64, v135
	scratch_store_dword off, v70, off offset:360 ; 4-byte Folded Spill
	v_add_u32_e32 v135, 0x100, v70
	v_bitop3_b32 v70, v185, v183, 4 bitop3:0x36
	v_sub_u32_e32 v69, v70, v69
	v_lshlrev_b32_e32 v66, 4, v66
	s_movk_i32 s92, 0x200
	v_lshlrev_b32_e32 v71, 3, v69
	v_cmp_gt_i32_e64 s[6:7], s64, v136
	v_add3_u32 v66, v67, s92, v66
	v_lshlrev_b32_e32 v68, 4, v68
	scratch_store_dword off, v71, off offset:368 ; 4-byte Folded Spill
	v_add_u32_e32 v136, 0x100, v71
	v_bitop3_b32 v71, v185, v183, 5 bitop3:0x36
	v_add3_u32 v68, v66, s92, v68
	v_lshlrev_b32_e32 v69, 4, v69
	v_sub_u32_e32 v70, v71, v70
	s_waitcnt vmcnt(32)
	v_cndmask_b32_e64 v77, 0, v77, s[2:3]
	v_cndmask_b32_e64 v76, 0, v76, s[2:3]
	v_cndmask_b32_e64 v75, 0, v75, s[2:3]
	v_cndmask_b32_e64 v74, 0, v74, s[2:3]
	s_waitcnt vmcnt(31)
	v_cndmask_b32_e64 v81, 0, v81, s[4:5]
	v_cndmask_b32_e64 v80, 0, v80, s[4:5]
	v_cndmask_b32_e64 v79, 0, v79, s[4:5]
	v_cndmask_b32_e64 v78, 0, v78, s[4:5]
	;; [unrolled: 5-line block ×3, first 2 shown]
	v_add3_u32 v69, v68, s92, v69
	v_lshlrev_b32_e32 v72, 3, v70
	ds_write_b128 v66, v[74:77] offset:512
	ds_write_b128 v68, v[78:81] offset:512
	;; [unrolled: 1-line block ×3, first 2 shown]
	scratch_store_dword off, v72, off offset:376 ; 4-byte Folded Spill
	v_add_u32_e32 v84, 0x100, v72
	v_bitop3_b32 v72, v185, v183, 6 bitop3:0x36
	v_sub_u32_e32 v71, v72, v71
	v_lshlrev_b32_e32 v73, 3, v71
	scratch_store_dword off, v73, off offset:384 ; 4-byte Folded Spill
	v_add_u32_e32 v85, 0x100, v73
	v_bitop3_b32 v73, v185, v183, 7 bitop3:0x36
	s_ashr_i32 s93, s8, 5
	v_cmp_gt_i32_e64 s[8:9], s64, v137
	v_lshlrev_b32_e32 v70, 4, v70
	v_sub_u32_e32 v72, v73, v72
	s_waitcnt vmcnt(31)
	v_cndmask_b32_e64 v89, 0, v89, s[8:9]
	v_cndmask_b32_e64 v88, 0, v88, s[8:9]
	;; [unrolled: 1-line block ×4, first 2 shown]
	v_add3_u32 v70, v69, s92, v70
	v_lshlrev_b32_e32 v74, 3, v72
	ds_write_b128 v70, v[86:89] offset:512
	scratch_store_dword off, v74, off offset:392 ; 4-byte Folded Spill
	v_add_u32_e32 v86, 0x100, v74
	v_bitop3_b32 v74, v185, v183, 8 bitop3:0x36
	v_sub_u32_e32 v73, v74, v73
	v_lshlrev_b32_e32 v75, 3, v73
	scratch_store_dword off, v75, off offset:400 ; 4-byte Folded Spill
	v_add_u32_e32 v87, 0x100, v75
	v_bitop3_b32 v75, v185, v183, 9 bitop3:0x36
	v_sub_u32_e32 v74, v75, v74
	v_lshlrev_b32_e32 v76, 3, v74
	;; [unrolled: 5-line block ×3, first 2 shown]
	scratch_store_dword off, v77, off offset:416 ; 4-byte Folded Spill
	v_add_u32_e32 v89, 0x100, v77
	v_bitop3_b32 v77, v185, v183, 11 bitop3:0x36
	v_cmp_gt_i32_e64 s[10:11], s64, v138
	v_lshlrev_b32_e32 v71, 4, v71
	v_sub_u32_e32 v76, v77, v76
	s_waitcnt vmcnt(34)
	v_cndmask_b32_e64 v93, 0, v93, s[10:11]
	v_cndmask_b32_e64 v92, 0, v92, s[10:11]
	v_cndmask_b32_e64 v91, 0, v91, s[10:11]
	v_cndmask_b32_e64 v90, 0, v90, s[10:11]
	v_add3_u32 v71, v70, s92, v71
	v_lshlrev_b32_e32 v78, 3, v76
	ds_write_b128 v71, v[90:93] offset:512
	scratch_store_dword off, v78, off offset:424 ; 4-byte Folded Spill
	v_add_u32_e32 v90, 0x100, v78
	v_bitop3_b32 v78, v185, v183, 12 bitop3:0x36
	v_sub_u32_e32 v77, v78, v77
	v_lshlrev_b32_e32 v79, 3, v77
	scratch_store_dword off, v79, off offset:432 ; 4-byte Folded Spill
	v_add_u32_e32 v91, 0x100, v79
	v_bitop3_b32 v79, v185, v183, 13 bitop3:0x36
	v_cmp_gt_i32_e64 s[28:29], s64, v147
	v_lshlrev_b32_e32 v72, 4, v72
	v_sub_u32_e32 v78, v79, v78
	v_bitop3_b32 v147, v185, v183, 14 bitop3:0x36
	v_add_u32_e32 v83, v131, v134
	v_add3_u32 v72, v71, s92, v72
	v_lshlrev_b32_e32 v73, 4, v73
	v_lshlrev_b32_e32 v80, 3, v78
	v_sub_u32_e32 v79, v147, v79
	v_add3_u32 v83, v83, v135, v136
	v_add3_u32 v73, v72, s92, v73
	v_lshlrev_b32_e32 v74, 4, v74
	scratch_store_dword off, v80, off offset:440 ; 4-byte Folded Spill
	v_add_u32_e32 v92, 0x100, v80
	v_lshlrev_b32_e32 v80, 3, v79
	v_add3_u32 v83, v83, v84, v85
	v_add3_u32 v74, v73, s92, v74
	v_lshlrev_b32_e32 v75, 4, v75
	scratch_store_dword off, v80, off offset:448 ; 4-byte Folded Spill
	v_add_u32_e32 v93, 0x100, v80
	v_or_b32_e32 v80, 15, v130
	v_add3_u32 v83, v83, v86, v87
	v_add3_u32 v75, v74, s92, v75
	v_lshlrev_b32_e32 v76, 4, v76
	v_bitop3_b32 v80, v80, 31, v164 bitop3:0x48
	v_add3_u32 v83, v83, v88, v89
	v_add3_u32 v76, v75, s92, v76
	v_lshlrev_b32_e32 v77, 4, v77
	v_sub_u32_e32 v81, v80, v147
	v_add3_u32 v83, v83, v90, v91
	v_and_b32_e32 v165, 15, v164
	v_bitop3_b32 v180, v164, v179, 15 bitop3:0x6c
	v_add3_u32 v77, v76, s92, v77
	v_lshlrev_b32_e32 v78, 4, v78
	scratch_store_dword off, v164, off offset:472 ; 4-byte Folded Spill
	v_lshlrev_b32_e32 v82, 3, v81
	v_add3_u32 v164, v83, v92, v93
	v_sub_u32_e32 v80, v187, v80
	v_or_b32_e32 v163, 15, v133
	s_mul_i32 s70, s67, -15
	v_add3_u32 v78, v77, s92, v78
	v_add3_u32 v82, v164, v132, v82
	v_lshlrev_b32_e32 v79, 4, v79
	v_lshlrev_b32_e32 v80, 3, v80
	s_movk_i32 s30, 0xf300
	v_or_b32_e32 v149, 1, v133
	v_or_b32_e32 v150, 2, v133
	;; [unrolled: 1-line block ×14, first 2 shown]
	s_addk_i32 s70, 0x100
	v_cmp_gt_i32_e64 s[12:13], s64, v139
	v_cmp_gt_i32_e64 s[14:15], s64, v140
	v_cmp_gt_i32_e64 s[16:17], s64, v141
	v_cmp_gt_i32_e64 s[18:19], s64, v142
	v_cmp_gt_i32_e64 s[20:21], s64, v143
	v_cmp_gt_i32_e64 s[22:23], s64, v144
	v_cmp_gt_i32_e64 s[24:25], s64, v145
	v_cmp_gt_i32_e64 s[26:27], s64, v146
	v_add3_u32 v79, v78, s92, v79
	v_lshlrev_b32_e32 v81, 4, v81
	v_add3_u32 v80, v82, v80, s30
	v_cmp_gt_i32_e64 s[30:31], s65, v133
	v_cmp_gt_i32_e64 s[62:63], s65, v163
	v_add_u32_e32 v148, s70, v148
	s_waitcnt vmcnt(38)
	v_cndmask_b32_e64 v97, 0, v97, s[12:13]
	v_cndmask_b32_e64 v96, 0, v96, s[12:13]
	v_cndmask_b32_e64 v95, 0, v95, s[12:13]
	v_cndmask_b32_e64 v94, 0, v94, s[12:13]
	s_waitcnt vmcnt(37)
	v_cndmask_b32_e64 v101, 0, v101, s[14:15]
	v_cndmask_b32_e64 v100, 0, v100, s[14:15]
	v_cndmask_b32_e64 v99, 0, v99, s[14:15]
	v_cndmask_b32_e64 v98, 0, v98, s[14:15]
	;; [unrolled: 5-line block ×9, first 2 shown]
	v_add3_u32 v81, v79, s92, v81
	s_waitcnt vmcnt(29)
	v_cndmask_b32_e64 v65, 0, v65, s[30:31]
	v_cndmask_b32_e64 v64, 0, v64, s[30:31]
	v_cndmask_b32_e64 v63, 0, v63, s[30:31]
	v_cndmask_b32_e64 v62, 0, v62, s[30:31]
	v_cmp_gt_i32_e64 s[34:35], s65, v149
	v_cmp_gt_i32_e64 s[36:37], s65, v150
	;; [unrolled: 1-line block ×14, first 2 shown]
	s_waitcnt vmcnt(14)
	v_cndmask_b32_e64 v2, 0, v2, s[62:63]
	ds_write_b128 v72, v[94:97] offset:512
	ds_write_b128 v73, v[98:101] offset:512
	ds_write_b128 v74, v[102:105] offset:512
	ds_write_b128 v75, v[106:109] offset:512
	ds_write_b128 v76, v[110:113] offset:512
	ds_write_b128 v77, v[114:117] offset:512
	ds_write_b128 v78, v[118:121] offset:512
	scratch_store_dword off, v131, off offset:348 ; 4-byte Folded Spill
	scratch_store_dword off, v134, off offset:356 ; 4-byte Folded Spill
	;; [unrolled: 1-line block ×14, first 2 shown]
	ds_write_b128 v79, v[122:125] offset:512
	ds_write_b128 v81, v[126:129] offset:512
	scratch_store_dword off, v80, off offset:48 ; 4-byte Folded Spill
	v_cndmask_b32_e64 v57, 0, v57, s[34:35]
	v_cndmask_b32_e64 v56, 0, v56, s[34:35]
	v_cndmask_b32_e64 v55, 0, v55, s[34:35]
	v_cndmask_b32_e64 v54, 0, v54, s[34:35]
	v_cndmask_b32_e64 v61, 0, v61, s[36:37]
	v_cndmask_b32_e64 v60, 0, v60, s[36:37]
	v_cndmask_b32_e64 v59, 0, v59, s[36:37]
	v_cndmask_b32_e64 v58, 0, v58, s[36:37]
	v_cndmask_b32_e64 v49, 0, v49, s[38:39]
	v_cndmask_b32_e64 v48, 0, v48, s[38:39]
	v_cndmask_b32_e64 v47, 0, v47, s[38:39]
	v_cndmask_b32_e64 v46, 0, v46, s[38:39]
	v_cndmask_b32_e64 v53, 0, v53, s[40:41]
	v_cndmask_b32_e64 v52, 0, v52, s[40:41]
	v_cndmask_b32_e64 v51, 0, v51, s[40:41]
	v_cndmask_b32_e64 v50, 0, v50, s[40:41]
	v_cndmask_b32_e64 v41, 0, v41, s[42:43]
	v_cndmask_b32_e64 v40, 0, v40, s[42:43]
	v_cndmask_b32_e64 v39, 0, v39, s[42:43]
	v_cndmask_b32_e64 v38, 0, v38, s[42:43]
	v_cndmask_b32_e64 v45, 0, v45, s[44:45]
	v_cndmask_b32_e64 v44, 0, v44, s[44:45]
	v_cndmask_b32_e64 v43, 0, v43, s[44:45]
	v_cndmask_b32_e64 v42, 0, v42, s[44:45]
	v_cndmask_b32_e64 v33, 0, v33, s[46:47]
	v_cndmask_b32_e64 v32, 0, v32, s[46:47]
	v_cndmask_b32_e64 v31, 0, v31, s[46:47]
	v_cndmask_b32_e64 v30, 0, v30, s[46:47]
	v_cndmask_b32_e64 v37, 0, v37, s[48:49]
	v_cndmask_b32_e64 v36, 0, v36, s[48:49]
	v_cndmask_b32_e64 v35, 0, v35, s[48:49]
	v_cndmask_b32_e64 v34, 0, v34, s[48:49]
	v_cndmask_b32_e64 v25, 0, v25, s[50:51]
	v_cndmask_b32_e64 v24, 0, v24, s[50:51]
	v_cndmask_b32_e64 v23, 0, v23, s[50:51]
	v_cndmask_b32_e64 v22, 0, v22, s[50:51]
	v_cndmask_b32_e64 v29, 0, v29, s[52:53]
	v_cndmask_b32_e64 v28, 0, v28, s[52:53]
	v_cndmask_b32_e64 v27, 0, v27, s[52:53]
	v_cndmask_b32_e64 v26, 0, v26, s[52:53]
	v_cndmask_b32_e64 v17, 0, v17, s[54:55]
	v_cndmask_b32_e64 v16, 0, v16, s[54:55]
	v_cndmask_b32_e64 v15, 0, v15, s[54:55]
	v_cndmask_b32_e64 v14, 0, v14, s[54:55]
	v_cndmask_b32_e64 v21, 0, v21, s[56:57]
	v_cndmask_b32_e64 v20, 0, v20, s[56:57]
	v_cndmask_b32_e64 v19, 0, v19, s[56:57]
	v_cndmask_b32_e64 v18, 0, v18, s[56:57]
	v_cndmask_b32_e64 v9, 0, v9, s[58:59]
	v_cndmask_b32_e64 v8, 0, v8, s[58:59]
	v_cndmask_b32_e64 v7, 0, v7, s[58:59]
	v_cndmask_b32_e64 v6, 0, v6, s[58:59]
	v_cndmask_b32_e64 v13, 0, v13, s[60:61]
	v_cndmask_b32_e64 v12, 0, v12, s[60:61]
	v_cndmask_b32_e64 v11, 0, v11, s[60:61]
	v_cndmask_b32_e64 v10, 0, v10, s[60:61]
	v_cndmask_b32_e64 v5, 0, v5, s[62:63]
	v_cndmask_b32_e64 v4, 0, v4, s[62:63]
	v_cndmask_b32_e64 v3, 0, v3, s[62:63]
	ds_write_b128 v1, v[62:65] offset:16384
	ds_write_b128 v67, v[54:57] offset:16896
	;; [unrolled: 1-line block ×16, first 2 shown]
	v_lshlrev_b32_e32 v1, 1, v148
	v_add_u32_e32 v2, s67, v148
	s_mul_i32 s91, s68, -15
	v_lshlrev_b32_e32 v3, 1, v2
	buffer_load_dwordx4 v[50:53], v1, s[72:75], 0 offen
	buffer_load_dwordx4 v[46:49], v3, s[72:75], 0 offen
	v_add_u32_e32 v1, s67, v2
	s_addk_i32 s91, 0x100
	v_lshlrev_b32_e32 v2, 1, v1
	v_add_u32_e32 v1, s67, v1
	v_add_u32_e32 v0, s91, v0
	v_lshlrev_b32_e32 v3, 1, v1
	buffer_load_dwordx4 v[86:89], v2, s[72:75], 0 offen
	buffer_load_dwordx4 v[82:85], v3, s[72:75], 0 offen
	v_lshlrev_b32_e32 v3, 1, v0
	v_add_u32_e32 v0, s68, v0
	v_lshlrev_b32_e32 v4, 1, v0
	v_add_u32_e32 v0, s68, v0
	v_add_u32_e32 v1, s67, v1
	buffer_load_dwordx4 v[22:25], v3, s[80:83], 0 offen
	buffer_load_dwordx4 v[18:21], v4, s[80:83], 0 offen
	v_lshlrev_b32_e32 v3, 1, v0
	v_add_u32_e32 v0, s68, v0
	v_lshlrev_b32_e32 v2, 1, v1
	v_lshlrev_b32_e32 v4, 1, v0
	v_add_u32_e32 v1, s67, v1
	buffer_load_dwordx4 v[66:69], v3, s[80:83], 0 offen
	buffer_load_dwordx4 v[26:29], v4, s[80:83], 0 offen
	v_lshlrev_b32_e32 v4, 1, v1
	v_add_u32_e32 v1, s67, v1
	buffer_load_dwordx4 v[90:93], v2, s[72:75], 0 offen
	buffer_load_dwordx4 v[94:97], v4, s[72:75], 0 offen
	v_lshlrev_b32_e32 v4, 1, v1
	v_add_u32_e32 v1, s67, v1
	v_lshlrev_b32_e32 v6, 1, v1
	v_add_u32_e32 v1, s67, v1
	buffer_load_dwordx4 v[98:101], v4, s[72:75], 0 offen
	buffer_load_dwordx4 v[102:105], v6, s[72:75], 0 offen
	v_lshlrev_b32_e32 v6, 1, v1
	v_add_u32_e32 v1, s67, v1
	v_add_u32_e32 v0, s68, v0
	v_lshlrev_b32_e32 v8, 1, v1
	v_add_u32_e32 v1, s67, v1
	v_lshlrev_b32_e32 v3, 1, v0
	v_add_u32_e32 v0, s68, v0
	buffer_load_dwordx4 v[106:109], v6, s[72:75], 0 offen
	buffer_load_dwordx4 v[110:113], v8, s[72:75], 0 offen
	v_lshlrev_b32_e32 v8, 1, v1
	v_add_u32_e32 v1, s67, v1
	v_add_u32_e32 v2, s68, v0
	v_lshlrev_b32_e32 v10, 1, v1
	v_add_u32_e32 v1, s67, v1
	v_add_u32_e32 v5, s68, v2
	buffer_load_dwordx4 v[114:117], v8, s[72:75], 0 offen
	buffer_load_dwordx4 v[118:121], v10, s[72:75], 0 offen
	v_lshlrev_b32_e32 v10, 1, v1
	v_add_u32_e32 v1, s67, v1
	v_add_u32_e32 v4, s68, v5
	v_lshlrev_b32_e32 v12, 1, v1
	v_add_u32_e32 v7, s68, v4
	buffer_load_dwordx4 v[122:125], v10, s[72:75], 0 offen
	buffer_load_dwordx4 v[126:129], v12, s[72:75], 0 offen
	v_add_u32_e32 v12, s67, v1
	v_add_u32_e32 v6, s68, v7
	v_lshlrev_b32_e32 v13, 1, v12
	v_add_u32_e32 v146, s67, v12
	v_lshlrev_b32_e32 v0, 1, v0
	;; [unrolled: 2-line block ×3, first 2 shown]
	buffer_load_dwordx4 v[34:37], v13, s[72:75], 0 offen
	buffer_load_dwordx4 v[78:81], v12, s[72:75], 0 offen
	;; [unrolled: 1-line block ×4, first 2 shown]
	v_lshlrev_b32_e32 v0, 1, v2
	v_add_u32_e32 v8, s68, v9
	v_lshlrev_b32_e32 v2, 1, v5
	buffer_load_dwordx4 v[38:41], v0, s[80:83], 0 offen
	buffer_load_dwordx4 v[74:77], v2, s[80:83], 0 offen
	v_lshlrev_b32_e32 v0, 1, v4
	v_add_u32_e32 v11, s68, v8
	v_lshlrev_b32_e32 v2, 1, v7
	buffer_load_dwordx4 v[30:33], v0, s[80:83], 0 offen
	buffer_load_dwordx4 v[142:145], v2, s[80:83], 0 offen
	;; [unrolled: 5-line block ×4, first 2 shown]
	v_lshlrev_b32_e32 v0, 1, v10
	v_lshlrev_b32_e32 v2, 1, v1
	buffer_load_dwordx4 v[62:65], v0, s[80:83], 0 offen
	buffer_load_dwordx4 v[54:57], v2, s[80:83], 0 offen
	v_lshlrev_b32_e32 v0, 9, v165
	v_lshl_or_b32 v16, v180, 4, v0
	v_bitop3_b32 v0, v179, v165, 1 bitop3:0x36
	v_sub_u32_e32 v0, v0, v180
	v_bitop3_b32 v2, v179, v165, 2 bitop3:0x36
	v_lshlrev_b32_e32 v0, 4, v0
	v_sub_u32_e32 v2, v2, v180
	v_bitop3_b32 v3, v179, v165, 3 bitop3:0x36
	v_lshlrev_b32_e32 v2, 4, v2
	v_sub_u32_e32 v3, v3, v180
	v_bitop3_b32 v4, v179, v165, 4 bitop3:0x36
	v_add_u32_e32 v0, v16, v0
	v_lshlrev_b32_e32 v3, 4, v3
	v_sub_u32_e32 v4, v4, v180
	v_bitop3_b32 v5, v179, v165, 5 bitop3:0x36
	scratch_store_dword off, v0, off offset:24 ; 4-byte Folded Spill
	v_add_u32_e32 v0, v16, v2
	v_lshlrev_b32_e32 v4, 4, v4
	v_sub_u32_e32 v5, v5, v180
	v_bitop3_b32 v6, v179, v165, 6 bitop3:0x36
	scratch_store_dword off, v0, off offset:344 ; 4-byte Folded Spill
	;; [unrolled: 5-line block ×3, first 2 shown]
	v_add_u32_e32 v0, v16, v4
	v_lshlrev_b32_e32 v6, 4, v6
	v_sub_u32_e32 v7, v7, v180
	scratch_store_dword off, v0, off offset:340 ; 4-byte Folded Spill
	v_add_u32_e32 v0, v16, v5
	v_lshlrev_b32_e32 v7, 4, v7
	scratch_store_dword off, v0, off offset:336 ; 4-byte Folded Spill
	v_add_u32_e32 v0, v16, v6
	scratch_store_dword off, v0, off offset:4 ; 4-byte Folded Spill
	v_add_u32_e32 v0, v16, v7
	scratch_store_dword off, v0, off        ; 4-byte Folded Spill
	v_bitop3_b32 v0, v185, v183, 15 bitop3:0x36
	v_sub_u32_e32 v2, v0, v147
	v_lshlrev_b32_e32 v2, 3, v2
	scratch_store_dword off, v2, off offset:456 ; 4-byte Folded Spill
	v_add_u32_e32 v3, 0x100, v2
	v_sub_u32_e32 v0, v187, v0
	v_mov_b32_e32 v2, 0xfffff100
	s_movk_i32 s94, 0x100
	v_bitop3_b32 v8, v179, v165, 16 bitop3:0x1e
	v_or_b32_e32 v9, 16, v165
	v_lshl_add_u32 v2, v0, 3, v2
	v_add_u32_e32 v0, v164, v3
	v_sub_u32_e32 v8, v8, v180
	v_bitop3_b32 v10, v179, v9, 1 bitop3:0x36
	v_add3_u32 v0, v0, v2, s94
	v_lshlrev_b32_e32 v8, 4, v8
	v_sub_u32_e32 v10, v10, v180
	v_bitop3_b32 v11, v179, v9, 2 bitop3:0x36
	v_add_u32_e32 v0, v0, v0
	v_lshlrev_b32_e32 v10, 4, v10
	v_sub_u32_e32 v11, v11, v180
	v_bitop3_b32 v12, v179, v9, 3 bitop3:0x36
	scratch_store_dword off, v0, off offset:468 ; 4-byte Folded Spill
	v_add_u32_e32 v0, v16, v8
	v_lshlrev_b32_e32 v11, 4, v11
	v_sub_u32_e32 v12, v12, v180
	v_bitop3_b32 v13, v179, v9, 4 bitop3:0x36
	scratch_store_dword off, v0, off offset:44 ; 4-byte Folded Spill
	;; [unrolled: 5-line block ×5, first 2 shown]
	v_add_u32_e32 v0, v16, v13
	v_lshlrev_b32_e32 v15, 4, v15
	v_sub_u32_e32 v9, v9, v180
	scratch_store_dword off, v0, off offset:28 ; 4-byte Folded Spill
	v_add_u32_e32 v0, v16, v14
	v_lshlrev_b32_e32 v9, 4, v9
	v_mov_b32_e32 v148, 0
	scratch_store_dword off, v0, off offset:20 ; 4-byte Folded Spill
	v_add_u32_e32 v0, v16, v15
	s_mov_b32 s89, s67
	s_mov_b32 s90, s68
	;; [unrolled: 1-line block ×6, first 2 shown]
	s_add_i32 s80, s93, -2
	scratch_store_dword off, v165, off offset:476 ; 4-byte Folded Spill
	scratch_store_dword off, v3, off offset:460 ; 4-byte Folded Spill
	;; [unrolled: 1-line block ×5, first 2 shown]
	v_add_u32_e32 v0, v16, v9
	v_mov_b32_e32 v149, v148
	v_mov_b32_e32 v150, v148
	;; [unrolled: 1-line block ×15, first 2 shown]
	scratch_store_dword off, v0, off offset:8 ; 4-byte Folded Spill
.LBB1_12:                               ; =>This Inner Loop Header: Depth=1
	s_waitcnt vmcnt(9)
	scratch_store_dwordx4 off, v[38:41], off offset:280 ; 16-byte Folded Spill
	s_waitcnt vmcnt(5)
	scratch_store_dwordx4 off, v[58:61], off offset:260 ; 16-byte Folded Spill
	scratch_store_dwordx4 off, v[74:77], off offset:244 ; 16-byte Folded Spill
	s_waitcnt vmcnt(6)
	scratch_store_dwordx4 off, v[134:137], off offset:228 ; 16-byte Folded Spill
	s_waitcnt vmcnt(6)
	;; [unrolled: 2-line block ×4, first 2 shown]
	scratch_store_dwordx4 off, v[54:57], off offset:52 ; 16-byte Folded Spill
	v_add_u32_e32 v192, s91, v1
	s_waitcnt lgkmcnt(0)
	; wave barrier
	scratch_load_dword v179, off, off offset:332 ; 4-byte Folded Reload
	scratch_load_dword v178, off, off offset:344 ; 4-byte Folded Reload
	;; [unrolled: 1-line block ×15, first 2 shown]
	scratch_load_dword v7, off, off         ; 4-byte Folded Reload
	v_mov_b64_e32 v[132:133], v[44:45]
	v_mov_b64_e32 v[76:77], v[32:33]
	;; [unrolled: 1-line block ×8, first 2 shown]
	v_add_u32_e32 v209, s70, v146
	v_mov_b64_e32 v[44:45], v[150:151]
	v_mov_b64_e32 v[136:137], v[154:155]
	v_mov_b64_e32 v[40:41], v[158:159]
	v_mov_b64_e32 v[32:33], v[162:163]
	v_mov_b64_e32 v[56:57], v[20:21]
	v_mov_b64_e32 v[60:61], v[24:25]
	v_mov_b64_e32 v[64:65], v[28:29]
	v_mov_b64_e32 v[54:55], v[18:19]
	v_mov_b64_e32 v[58:59], v[22:23]
	v_mov_b64_e32 v[62:63], v[26:27]
	s_waitcnt vmcnt(15)
	ds_read_b128 v[200:203], v179
	s_waitcnt vmcnt(14)
	ds_read_b128 v[210:213], v178
	s_waitcnt vmcnt(13)
	ds_read_b128 v[218:221], v198
	s_waitcnt vmcnt(12)
	ds_read_b128 v[222:225], v199
	s_waitcnt vmcnt(11)
	ds_read_b128 v[234:237], v6 offset:8192
	s_waitcnt vmcnt(10)
	ds_read_b128 v[238:241], v3 offset:8192
	;; [unrolled: 2-line block ×4, first 2 shown]
	s_waitcnt vmcnt(7)
	ds_read_b128 v[204:207], v10
	s_waitcnt vmcnt(6)
	ds_read_b128 v[214:217], v9
	;; [unrolled: 2-line block ×3, first 2 shown]
	s_waitcnt vmcnt(4)
	ds_read_b128 v[250:253], v4 offset:8192
	s_waitcnt vmcnt(3)
	ds_read_b128 v[146:149], v5 offset:8192
	;; [unrolled: 2-line block ×4, first 2 shown]
	s_waitcnt vmcnt(0)
	ds_read_b128 v[230:233], v7
	ds_read_b128 v[158:161], v179 offset:16384
	ds_read_b128 v[162:165], v10 offset:16384
	;; [unrolled: 1-line block ×16, first 2 shown]
	; sched_barrier mask(0x00000000)
	; wave barrier
	; sched_barrier mask(0x00000000)
	s_waitcnt lgkmcnt(14)
	v_mfma_f32_16x16x32_f16 v[30:33], v[200:203], v[158:161], v[30:33]
	; sched_barrier mask(0x00000000)
	s_setprio 1
	; sched_barrier mask(0x00000000)
	s_waitcnt lgkmcnt(7)
	v_mfma_f32_16x16x32_f16 v[200:203], v[200:203], v[174:177], v[38:41]
	v_mfma_f32_16x16x32_f16 v[174:177], v[234:237], v[174:177], v[42:45]
	v_mfma_f32_16x16x32_f16 v[30:33], v[204:207], v[162:165], v[30:33]
	v_mfma_f32_16x16x32_f16 v[158:161], v[234:237], v[158:161], v[134:137]
	s_waitcnt lgkmcnt(6)
	v_mfma_f32_16x16x32_f16 v[200:203], v[204:207], v[6:9], v[200:203]
	v_mfma_f32_16x16x32_f16 v[4:7], v[238:241], v[6:9], v[174:177]
	v_mfma_f32_16x16x32_f16 v[30:33], v[210:213], v[166:169], v[30:33]
	v_mfma_f32_16x16x32_f16 v[158:161], v[238:241], v[162:165], v[158:161]
	;; [unrolled: 5-line block ×7, first 2 shown]
	s_nop 6
	scratch_store_dwordx4 off, v[0:3], off offset:176 ; 16-byte Folded Spill
	s_waitcnt lgkmcnt(0)
	s_nop 0
	v_mfma_f32_16x16x32_f16 v[0:3], v[230:233], v[26:29], v[16:19]
	s_nop 7
	scratch_store_dwordx4 off, v[0:3], off offset:144 ; 16-byte Folded Spill
	s_nop 1
	v_mfma_f32_16x16x32_f16 v[0:3], v[154:157], v[188:191], v[30:33]
	s_nop 7
	scratch_store_dwordx4 off, v[0:3], off offset:160 ; 16-byte Folded Spill
	; sched_barrier mask(0x00000000)
	s_waitcnt lgkmcnt(0)
	; wave barrier
	; sched_barrier mask(0x00000000)
	s_nop 0
	v_mfma_f32_16x16x32_f16 v[0:3], v[154:157], v[26:29], v[20:23]
	s_nop 7
	scratch_store_dwordx4 off, v[0:3], off offset:192 ; 16-byte Folded Spill
	; sched_barrier mask(0x00000000)
	s_setprio 0
	; sched_barrier mask(0x00000000)
	scratch_load_dwordx4 v[6:9], off, off offset:280 ; 16-byte Folded Reload
	scratch_load_dword v40, off, off offset:48 ; 4-byte Folded Reload
	scratch_load_dword v1, off, off offset:348 ; 4-byte Folded Reload
	v_cndmask_b32_e32 v21, 0, v53, vcc
	v_cndmask_b32_e32 v20, 0, v52, vcc
	v_cndmask_b32_e32 v19, 0, v51, vcc
	v_cndmask_b32_e32 v18, 0, v50, vcc
	v_cndmask_b32_e64 v25, 0, v49, s[0:1]
	v_cndmask_b32_e64 v24, 0, v48, s[0:1]
	;; [unrolled: 1-line block ×73, first 2 shown]
	s_waitcnt vmcnt(2)
	v_cndmask_b32_e64 v159, 0, v9, s[44:45]
	v_cndmask_b32_e64 v158, 0, v8, s[44:45]
	;; [unrolled: 1-line block ×4, first 2 shown]
	scratch_load_dwordx4 v[6:9], off, off offset:244 ; 16-byte Folded Reload
	v_cndmask_b32_e64 v166, 0, v76, s[48:49]
	v_cndmask_b32_e64 v165, 0, v75, s[48:49]
	;; [unrolled: 1-line block ×11, first 2 shown]
	s_waitcnt vmcnt(0)
	v_cndmask_b32_e64 v163, 0, v9, s[46:47]
	v_cndmask_b32_e64 v162, 0, v8, s[46:47]
	v_cndmask_b32_e64 v161, 0, v7, s[46:47]
	v_cndmask_b32_e64 v160, 0, v6, s[46:47]
	scratch_load_dwordx4 v[6:9], off, off offset:260 ; 16-byte Folded Reload
	s_waitcnt vmcnt(0)
	v_cndmask_b32_e64 v183, 0, v9, s[54:55]
	v_cndmask_b32_e64 v182, 0, v8, s[54:55]
	v_cndmask_b32_e64 v181, 0, v7, s[54:55]
	v_cndmask_b32_e64 v180, 0, v6, s[54:55]
	scratch_load_dwordx4 v[6:9], off, off offset:228 ; 16-byte Folded Reload
	;; [unrolled: 6-line block ×5, first 2 shown]
	v_lshlrev_b32_e32 v0, 1, v40
	v_lshlrev_b32_e32 v1, 1, v1
	scratch_store_dword off, v1, off offset:84 ; 4-byte Folded Spill
	v_add_u32_e32 v2, v0, v1
	scratch_load_dword v1, off, off offset:352 ; 4-byte Folded Reload
	ds_write_b128 v0, v[18:21]
	ds_write_b128 v2, v[22:25] offset:512
	v_mov_b32_e32 v3, v2
	v_cndmask_b32_e64 v21, 0, v61, s[30:31]
	v_cndmask_b32_e64 v20, 0, v60, s[30:31]
	;; [unrolled: 1-line block ×8, first 2 shown]
	v_mov_b32_e32 v5, v3
	scratch_store_dword off, v5, off offset:276 ; 4-byte Folded Spill
	s_waitcnt vmcnt(3)
	v_cndmask_b32_e64 v215, 0, v9, s[62:63]
	v_cndmask_b32_e64 v214, 0, v8, s[62:63]
	;; [unrolled: 1-line block ×4, first 2 shown]
	s_waitcnt vmcnt(1)
	v_lshlrev_b32_e32 v1, 1, v1
	scratch_store_dword off, v1, off offset:88 ; 4-byte Folded Spill
	v_add3_u32 v1, v2, s92, v1
	scratch_load_dword v2, off, off offset:360 ; 4-byte Folded Reload
	ds_write_b128 v1, v[26:29] offset:512
	s_waitcnt vmcnt(0)
	v_lshlrev_b32_e32 v2, 1, v2
	scratch_store_dword off, v2, off offset:92 ; 4-byte Folded Spill
	v_add3_u32 v1, v1, s92, v2
	scratch_load_dword v2, off, off offset:368 ; 4-byte Folded Reload
	ds_write_b128 v1, v[30:33] offset:512
	;; [unrolled: 6-line block ×13, first 2 shown]
	s_waitcnt vmcnt(0)
	v_lshlrev_b32_e32 v2, 1, v2
	v_add3_u32 v1, v1, s92, v2
	scratch_store_dword off, v2, off offset:140 ; 4-byte Folded Spill
	scratch_store_dword off, v1, off offset:208 ; 4-byte Folded Spill
	ds_write_b128 v1, v[126:129] offset:512
	ds_write_b128 v0, v[18:21] offset:16384
	;; [unrolled: 1-line block ×3, first 2 shown]
	v_lshlrev_b32_e32 v0, 1, v209
	v_add_u32_e32 v1, s67, v209
	v_lshlrev_b32_e32 v2, 1, v1
	buffer_load_dwordx4 v[216:219], v0, s[72:75], 0 offen
	buffer_load_dwordx4 v[220:223], v2, s[72:75], 0 offen
	v_add_u32_e32 v0, s67, v1
	v_lshlrev_b32_e32 v1, 1, v0
	v_add_u32_e32 v0, s67, v0
	v_lshlrev_b32_e32 v2, 1, v0
	v_add_u32_e32 v0, s67, v0
	buffer_load_dwordx4 v[224:227], v1, s[72:75], 0 offen
	buffer_load_dwordx4 v[138:141], v2, s[72:75], 0 offen
	v_lshlrev_b32_e32 v1, 1, v0
	v_add_u32_e32 v0, s67, v0
	v_lshlrev_b32_e32 v2, 1, v0
	v_add_u32_e32 v0, s67, v0
	buffer_load_dwordx4 v[130:133], v1, s[72:75], 0 offen
	buffer_load_dwordx4 v[122:125], v2, s[72:75], 0 offen
	;; [unrolled: 6-line block ×6, first 2 shown]
	v_lshlrev_b32_e32 v1, 1, v0
	v_add_u32_e32 v0, s67, v0
	v_lshlrev_b32_e32 v2, 1, v0
	buffer_load_dwordx4 v[86:89], v1, s[72:75], 0 offen
	buffer_load_dwordx4 v[82:85], v2, s[72:75], 0 offen
	v_lshlrev_b32_e32 v1, 1, v192
	v_add_u32_e32 v2, s68, v192
	v_lshlrev_b32_e32 v3, 1, v2
	buffer_load_dwordx4 v[78:81], v1, s[76:79], 0 offen
	buffer_load_dwordx4 v[62:65], v3, s[76:79], 0 offen
	v_add_u32_e32 v1, s68, v2
	v_lshlrev_b32_e32 v2, 1, v1
	v_add_u32_e32 v1, s68, v1
	v_lshlrev_b32_e32 v3, 1, v1
	v_add_u32_e32 v1, s68, v1
	buffer_load_dwordx4 v[74:77], v2, s[76:79], 0 offen
	buffer_load_dwordx4 v[54:57], v3, s[76:79], 0 offen
	v_lshlrev_b32_e32 v2, 1, v1
	v_add_u32_e32 v1, s68, v1
	v_lshlrev_b32_e32 v3, 1, v1
	v_add_u32_e32 v1, s68, v1
	buffer_load_dwordx4 v[70:73], v2, s[76:79], 0 offen
	buffer_load_dwordx4 v[46:49], v3, s[76:79], 0 offen
	v_lshlrev_b32_e32 v2, 1, v1
	v_add_u32_e32 v1, s68, v1
	v_lshlrev_b32_e32 v3, 1, v1
	v_add_u32_e32 v1, s68, v1
	v_cndmask_b32_e64 v129, 0, v69, s[36:37]
	v_cndmask_b32_e64 v128, 0, v68, s[36:37]
	;; [unrolled: 1-line block ×4, first 2 shown]
	buffer_load_dwordx4 v[66:69], v2, s[76:79], 0 offen
	buffer_load_dwordx4 v[202:205], v3, s[76:79], 0 offen
	v_lshlrev_b32_e32 v2, 1, v1
	v_add_u32_e32 v1, s68, v1
	v_lshlrev_b32_e32 v3, 1, v1
	v_add_u32_e32 v1, s68, v1
	buffer_load_dwordx4 v[58:61], v2, s[76:79], 0 offen
	buffer_load_dwordx4 v[252:255], v3, s[76:79], 0 offen
	v_lshlrev_b32_e32 v2, 1, v1
	v_add_u32_e32 v1, s68, v1
	v_lshlrev_b32_e32 v3, 1, v1
	buffer_load_dwordx4 v[50:53], v2, s[76:79], 0 offen
	buffer_load_dwordx4 v[6:9], v3, s[76:79], 0 offen
	v_add_u32_e32 v1, s68, v1
	v_lshlrev_b32_e32 v2, 1, v1
	v_add_u32_e32 v1, s68, v1
	v_lshlrev_b32_e32 v3, 1, v1
	v_add_u32_e32 v1, s68, v1
	v_add_u32_e32 v0, s70, v0
	s_waitcnt vmcnt(0)
	scratch_store_dwordx4 off, v[6:9], off offset:280 ; 16-byte Folded Spill
	buffer_load_dwordx4 v[42:45], v2, s[76:79], 0 offen
	s_nop 0
	buffer_load_dwordx4 v[6:9], v3, s[76:79], 0 offen
	v_lshlrev_b32_e32 v2, 1, v1
	v_add_u32_e32 v1, s68, v1
	v_lshlrev_b32_e32 v3, 1, v1
	scratch_store_dword off, v0, off offset:68 ; 4-byte Folded Spill
	v_add_u32_e32 v0, s91, v1
	scratch_store_dword off, v0, off offset:52 ; 4-byte Folded Spill
	s_waitcnt vmcnt(2)
	scratch_store_dwordx4 off, v[6:9], off offset:260 ; 16-byte Folded Spill
	buffer_load_dwordx4 v[6:9], v2, s[76:79], 0 offen
	s_nop 0
	scratch_load_dword v2, off, off offset:356 ; 4-byte Folded Reload
	s_waitcnt vmcnt(1)
	scratch_store_dwordx4 off, v[6:9], off offset:300 ; 16-byte Folded Spill
	buffer_load_dwordx4 v[6:9], v3, s[76:79], 0 offen
	s_waitcnt vmcnt(2)
	v_lshl_add_u32 v3, v2, 1, v5
	scratch_load_dword v2, off, off offset:364 ; 4-byte Folded Reload
	ds_write_b128 v3, v[126:129] offset:16896
	scratch_store_dword off, v3, off offset:212 ; 4-byte Folded Spill
	s_waitcnt vmcnt(2)
	scratch_store_dwordx4 off, v[6:9], off offset:228 ; 16-byte Folded Spill
	s_waitcnt vmcnt(2)
	v_lshl_add_u32 v3, v2, 1, v3
	scratch_load_dword v2, off, off offset:372 ; 4-byte Folded Reload
	ds_write_b128 v3, v[134:137] offset:16896
	scratch_store_dword off, v3, off offset:244 ; 4-byte Folded Spill
	s_waitcnt vmcnt(1)
	v_lshl_add_u32 v3, v2, 1, v3
	scratch_load_dword v2, off, off offset:380 ; 4-byte Folded Reload
	ds_write_b128 v3, v[148:151] offset:16896
	scratch_store_dword off, v3, off offset:296 ; 4-byte Folded Spill
	s_waitcnt vmcnt(1)
	v_lshl_add_u32 v3, v2, 1, v3
	scratch_load_dword v2, off, off offset:388 ; 4-byte Folded Reload
	ds_write_b128 v3, v[152:155] offset:16896
	scratch_store_dword off, v3, off offset:316 ; 4-byte Folded Spill
	s_waitcnt vmcnt(1)
	v_lshl_add_u32 v3, v2, 1, v3
	scratch_load_dword v2, off, off offset:396 ; 4-byte Folded Reload
	ds_write_b128 v3, v[156:159] offset:16896
	scratch_store_dword off, v3, off offset:320 ; 4-byte Folded Spill
	s_waitcnt vmcnt(1)
	v_lshl_add_u32 v3, v2, 1, v3
	scratch_load_dword v2, off, off offset:404 ; 4-byte Folded Reload
	ds_write_b128 v3, v[160:163] offset:16896
	scratch_store_dword off, v3, off offset:324 ; 4-byte Folded Spill
	s_waitcnt vmcnt(1)
	v_lshl_add_u32 v3, v2, 1, v3
	scratch_load_dword v2, off, off offset:412 ; 4-byte Folded Reload
	ds_write_b128 v3, v[164:167] offset:16896
	scratch_store_dword off, v3, off offset:328 ; 4-byte Folded Spill
	s_waitcnt vmcnt(1)
	v_lshl_add_u32 v211, v2, 1, v3
	scratch_load_dword v2, off, off offset:420 ; 4-byte Folded Reload
	ds_write_b128 v211, v[168:171] offset:16896
	s_waitcnt vmcnt(0)
	v_lshl_add_u32 v210, v2, 1, v211
	scratch_load_dword v2, off, off offset:428 ; 4-byte Folded Reload
	ds_write_b128 v210, v[172:175] offset:16896
	;; [unrolled: 4-line block ×6, first 2 shown]
	s_waitcnt vmcnt(0)
	v_lshl_add_u32 v41, v2, 1, v146
	ds_write_b128 v41, v[212:215] offset:16896
	s_waitcnt lgkmcnt(0)
	; wave barrier
	ds_read_b128 v[134:137], v179
	ds_read_b128 v[148:151], v179 offset:16384
	scratch_load_dword v0, off, off offset:24 ; 4-byte Folded Reload
	s_waitcnt vmcnt(0)
	ds_read_b128 v[152:155], v0
	ds_read_b128 v[156:159], v0 offset:16384
	ds_read_b128 v[160:163], v178
	ds_read_b128 v[164:167], v178 offset:16384
	scratch_load_dword v0, off, off offset:12 ; 4-byte Folded Reload
	s_waitcnt vmcnt(0)
	ds_read_b128 v[168:171], v0
	ds_read_b128 v[172:175], v0 offset:16384
	ds_read_b128 v[180:183], v198
	ds_read_b128 v[184:187], v198 offset:16384
	;; [unrolled: 2-line block ×3, first 2 shown]
	scratch_load_dword v0, off, off offset:4 ; 4-byte Folded Reload
	s_waitcnt vmcnt(0)
	ds_read_b128 v[212:215], v0
	ds_read_b128 v[228:231], v0 offset:16384
	scratch_load_dword v0, off, off         ; 4-byte Folded Reload
	s_waitcnt vmcnt(0)
	ds_read_b128 v[232:235], v0
	ds_read_b128 v[236:239], v0 offset:16384
	scratch_load_dword v0, off, off offset:44 ; 4-byte Folded Reload
	s_waitcnt vmcnt(0)
	ds_read_b128 v[240:243], v0 offset:8192
	ds_read_b128 v[244:247], v0 offset:24576
	scratch_load_dword v0, off, off offset:40 ; 4-byte Folded Reload
	s_waitcnt vmcnt(0)
	ds_read_b128 v[248:251], v0 offset:8192
	;; [unrolled: 4-line block ×8, first 2 shown]
	ds_read_b128 v[32:35], v0 offset:24576
	; sched_barrier mask(0x00000000)
	; wave barrier
	; sched_barrier mask(0x00000000)
	scratch_load_dwordx4 v[0:3], off, off offset:176 ; 16-byte Folded Reload
	s_waitcnt vmcnt(0) lgkmcnt(14)
	v_mfma_f32_16x16x32_f16 v[0:3], v[134:137], v[148:151], v[0:3]
	; sched_barrier mask(0x00000000)
	s_setprio 1
	; sched_barrier mask(0x00000000)
	scratch_load_dwordx4 v[206:209], off, off offset:144 ; 16-byte Folded Reload
	v_mfma_f32_16x16x32_f16 v[0:3], v[152:155], v[156:159], v[0:3]
	v_mfma_f32_16x16x32_f16 v[0:3], v[160:163], v[164:167], v[0:3]
	;; [unrolled: 1-line block ×6, first 2 shown]
	s_waitcnt vmcnt(0)
	v_mfma_f32_16x16x32_f16 v[134:137], v[134:137], v[244:247], v[206:209]
	s_nop 2
	scratch_load_dwordx4 v[206:209], off, off offset:160 ; 16-byte Folded Reload
	s_waitcnt lgkmcnt(12)
	v_mfma_f32_16x16x32_f16 v[134:137], v[152:155], v[176:179], v[134:137]
	s_waitcnt lgkmcnt(10)
	v_mfma_f32_16x16x32_f16 v[134:137], v[160:163], v[198:201], v[134:137]
	s_waitcnt lgkmcnt(8)
	v_mfma_f32_16x16x32_f16 v[134:137], v[168:171], v[4:7], v[134:137]
	v_mfma_f32_16x16x32_f16 v[160:163], v[232:235], v[236:239], v[0:3]
	s_waitcnt vmcnt(0)
	v_mfma_f32_16x16x32_f16 v[148:151], v[240:243], v[148:151], v[206:209]
	s_nop 2
	scratch_load_dwordx4 v[206:209], off, off offset:192 ; 16-byte Folded Reload
	v_mfma_f32_16x16x32_f16 v[148:151], v[248:251], v[156:159], v[148:151]
	v_mfma_f32_16x16x32_f16 v[148:151], v[142:145], v[164:167], v[148:151]
	;; [unrolled: 1-line block ×3, first 2 shown]
	s_waitcnt vmcnt(0)
	v_mfma_f32_16x16x32_f16 v[240:243], v[240:243], v[244:247], v[206:209]
	v_mfma_f32_16x16x32_f16 v[152:155], v[248:251], v[176:179], v[240:243]
	v_mfma_f32_16x16x32_f16 v[142:145], v[142:145], v[198:201], v[152:155]
	v_mfma_f32_16x16x32_f16 v[4:7], v[126:129], v[4:7], v[142:145]
	s_waitcnt lgkmcnt(6)
	v_mfma_f32_16x16x32_f16 v[126:129], v[180:183], v[8:11], v[134:137]
	v_mfma_f32_16x16x32_f16 v[134:137], v[12:15], v[184:187], v[148:151]
	;; [unrolled: 1-line block ×3, first 2 shown]
	s_waitcnt lgkmcnt(4)
	v_mfma_f32_16x16x32_f16 v[8:11], v[188:191], v[16:19], v[126:129]
	v_mfma_f32_16x16x32_f16 v[12:15], v[20:23], v[194:197], v[134:137]
	s_waitcnt lgkmcnt(2)
	v_mfma_f32_16x16x32_f16 v[8:11], v[212:215], v[24:27], v[8:11]
	v_mfma_f32_16x16x32_f16 v[12:15], v[28:31], v[228:231], v[12:15]
	;; [unrolled: 1-line block ×3, first 2 shown]
	s_waitcnt lgkmcnt(0)
	v_mfma_f32_16x16x32_f16 v[156:159], v[232:235], v[32:35], v[8:11]
	v_mfma_f32_16x16x32_f16 v[152:155], v[36:39], v[236:239], v[12:15]
	;; [unrolled: 1-line block ×3, first 2 shown]
	; sched_barrier mask(0x00000000)
	s_waitcnt lgkmcnt(0)
	; wave barrier
	; sched_barrier mask(0x00000000)
	v_mfma_f32_16x16x32_f16 v[148:151], v[36:39], v[32:35], v[4:7]
	; sched_barrier mask(0x00000000)
	s_setprio 0
	; sched_barrier mask(0x00000000)
	v_cndmask_b32_e64 v36, 0, v106, s[16:17]
	scratch_load_dword v106, off, off offset:464 ; 4-byte Folded Reload
	v_cndmask_b32_e64 v37, 0, v107, s[16:17]
	scratch_load_dword v107, off, off offset:208 ; 4-byte Folded Reload
	v_cndmask_b32_e32 v3, 0, v219, vcc
	v_cndmask_b32_e32 v2, 0, v218, vcc
	;; [unrolled: 1-line block ×4, first 2 shown]
	v_cndmask_b32_e64 v7, 0, v223, s[0:1]
	v_cndmask_b32_e64 v6, 0, v222, s[0:1]
	;; [unrolled: 1-line block ×62, first 2 shown]
	s_add_i32 s71, s71, 2
	s_cmp_lt_i32 s71, s80
	s_waitcnt vmcnt(1)
	v_lshlrev_b32_e32 v106, 1, v106
	s_waitcnt vmcnt(0)
	v_add3_u32 v107, v107, s92, v106
	ds_write_b128 v107, v[0:3]
	scratch_load_dword v0, off, off offset:84 ; 4-byte Folded Reload
	scratch_load_dword v1, off, off offset:88 ; 4-byte Folded Reload
	v_cndmask_b32_e64 v3, 0, v81, s[30:31]
	v_cndmask_b32_e64 v2, 0, v80, s[30:31]
	s_waitcnt vmcnt(1)
	v_add_u32_e32 v0, v107, v0
	ds_write_b128 v0, v[4:7] offset:512
	s_waitcnt vmcnt(0)
	v_add3_u32 v0, v0, s92, v1
	scratch_load_dword v1, off, off offset:92 ; 4-byte Folded Reload
	ds_write_b128 v0, v[8:11] offset:512
	v_cndmask_b32_e64 v7, 0, v65, s[34:35]
	v_cndmask_b32_e64 v6, 0, v64, s[34:35]
	;; [unrolled: 1-line block ×4, first 2 shown]
	scratch_load_dwordx4 v[62:65], off, off offset:228 ; 16-byte Folded Reload
	v_cndmask_b32_e64 v11, 0, v77, s[36:37]
	v_cndmask_b32_e64 v10, 0, v76, s[36:37]
	;; [unrolled: 1-line block ×4, first 2 shown]
	s_waitcnt vmcnt(1)
	v_add3_u32 v0, v0, s92, v1
	scratch_load_dword v1, off, off offset:96 ; 4-byte Folded Reload
	ds_write_b128 v0, v[12:15] offset:512
	v_cndmask_b32_e64 v15, 0, v57, s[38:39]
	v_cndmask_b32_e64 v14, 0, v56, s[38:39]
	;; [unrolled: 1-line block ×4, first 2 shown]
	scratch_load_dwordx4 v[54:57], off, off offset:260 ; 16-byte Folded Reload
	s_waitcnt vmcnt(2)
	v_cndmask_b32_e64 v65, 0, v65, s[62:63]
	v_cndmask_b32_e64 v64, 0, v64, s[62:63]
	;; [unrolled: 1-line block ×4, first 2 shown]
	s_waitcnt vmcnt(1)
	v_add3_u32 v0, v0, s92, v1
	scratch_load_dword v1, off, off offset:100 ; 4-byte Folded Reload
	ds_write_b128 v0, v[16:19] offset:512
	v_cndmask_b32_e64 v19, 0, v73, s[40:41]
	v_cndmask_b32_e64 v18, 0, v72, s[40:41]
	;; [unrolled: 1-line block ×4, first 2 shown]
	s_waitcnt vmcnt(1)
	v_cndmask_b32_e64 v57, 0, v57, s[58:59]
	v_cndmask_b32_e64 v56, 0, v56, s[58:59]
	v_cndmask_b32_e64 v55, 0, v55, s[58:59]
	v_cndmask_b32_e64 v54, 0, v54, s[58:59]
	s_waitcnt vmcnt(0)
	v_add3_u32 v0, v0, s92, v1
	scratch_load_dword v1, off, off offset:104 ; 4-byte Folded Reload
	ds_write_b128 v0, v[20:23] offset:512
	v_cndmask_b32_e64 v23, 0, v49, s[42:43]
	v_cndmask_b32_e64 v22, 0, v48, s[42:43]
	;; [unrolled: 1-line block ×8, first 2 shown]
	scratch_load_dwordx4 v[50:53], off, off offset:280 ; 16-byte Folded Reload
	s_waitcnt vmcnt(1)
	v_add3_u32 v0, v0, s92, v1
	scratch_load_dword v1, off, off offset:108 ; 4-byte Folded Reload
	ds_write_b128 v0, v[24:27] offset:512
	v_cndmask_b32_e64 v24, 0, v66, s[44:45]
	v_add_u32_e32 v66, v41, v106
	v_cndmask_b32_e64 v27, 0, v69, s[44:45]
	v_cndmask_b32_e64 v26, 0, v68, s[44:45]
	;; [unrolled: 1-line block ×3, first 2 shown]
	s_waitcnt vmcnt(1)
	v_cndmask_b32_e64 v53, 0, v53, s[54:55]
	v_cndmask_b32_e64 v52, 0, v52, s[54:55]
	;; [unrolled: 1-line block ×4, first 2 shown]
	s_waitcnt vmcnt(0)
	v_add3_u32 v0, v0, s92, v1
	scratch_load_dword v1, off, off offset:112 ; 4-byte Folded Reload
	ds_write_b128 v0, v[28:31] offset:512
	v_cndmask_b32_e64 v31, 0, v205, s[46:47]
	v_cndmask_b32_e64 v30, 0, v204, s[46:47]
	;; [unrolled: 1-line block ×4, first 2 shown]
	s_waitcnt vmcnt(0)
	v_add3_u32 v0, v0, s92, v1
	scratch_load_dword v1, off, off offset:116 ; 4-byte Folded Reload
	ds_write_b128 v0, v[32:35] offset:512
	v_cndmask_b32_e64 v35, 0, v61, s[48:49]
	v_cndmask_b32_e64 v34, 0, v60, s[48:49]
	;; [unrolled: 1-line block ×4, first 2 shown]
	scratch_load_dwordx4 v[58:61], off, off offset:300 ; 16-byte Folded Reload
	s_waitcnt vmcnt(1)
	v_add3_u32 v0, v0, s92, v1
	scratch_load_dword v1, off, off offset:120 ; 4-byte Folded Reload
	ds_write_b128 v0, v[36:39] offset:512
	v_cndmask_b32_e64 v39, 0, v255, s[50:51]
	v_cndmask_b32_e64 v38, 0, v254, s[50:51]
	;; [unrolled: 1-line block ×4, first 2 shown]
	s_waitcnt vmcnt(1)
	v_cndmask_b32_e64 v61, 0, v61, s[60:61]
	v_cndmask_b32_e64 v60, 0, v60, s[60:61]
	;; [unrolled: 1-line block ×4, first 2 shown]
	s_waitcnt vmcnt(0)
	v_add3_u32 v0, v0, s92, v1
	scratch_load_dword v1, off, off offset:124 ; 4-byte Folded Reload
	ds_write_b128 v0, v[102:105] offset:512
	s_waitcnt vmcnt(0)
	v_add3_u32 v0, v0, s92, v1
	scratch_load_dword v1, off, off offset:128 ; 4-byte Folded Reload
	ds_write_b128 v0, v[98:101] offset:512
	;; [unrolled: 4-line block ×5, first 2 shown]
	s_waitcnt vmcnt(0)
	v_add3_u32 v0, v0, s92, v1
	ds_write_b128 v0, v[82:85] offset:512
	scratch_load_dword v0, off, off offset:468 ; 4-byte Folded Reload
	v_cndmask_b32_e64 v1, 0, v79, s[30:31]
	s_waitcnt vmcnt(0)
	v_add_u32_e32 v40, v40, v0
	v_cndmask_b32_e64 v0, 0, v78, s[30:31]
	ds_write_b128 v66, v[0:3] offset:16896
	scratch_load_dword v0, off, off offset:276 ; 4-byte Folded Reload
	s_waitcnt vmcnt(0)
	ds_write_b128 v0, v[4:7] offset:16896
	scratch_load_dword v0, off, off offset:212 ; 4-byte Folded Reload
	s_waitcnt vmcnt(0)
	;; [unrolled: 3-line block ×7, first 2 shown]
	ds_write_b128 v0, v[28:31] offset:16896
	scratch_load_dword v0, off, off offset:328 ; 4-byte Folded Reload
	s_nop 0
	scratch_store_dword off, v40, off offset:48 ; 4-byte Folded Spill
	s_waitcnt vmcnt(1)
	ds_write_b128 v0, v[32:35] offset:16896
	ds_write_b128 v211, v[36:39] offset:16896
	;; [unrolled: 1-line block ×8, first 2 shown]
	scratch_load_dword v1, off, off offset:68 ; 4-byte Folded Reload
	scratch_load_dword v2, off, off offset:52 ; 4-byte Folded Reload
	s_waitcnt vmcnt(1)
	v_lshlrev_b32_e32 v0, 1, v1
	buffer_load_dwordx4 v[50:53], v0, s[72:75], 0 offen
	v_add_u32_e32 v0, s67, v1
	v_lshlrev_b32_e32 v1, 1, v0
	v_add_u32_e32 v0, s67, v0
	buffer_load_dwordx4 v[46:49], v1, s[72:75], 0 offen
	v_lshlrev_b32_e32 v1, 1, v0
	v_add_u32_e32 v0, s67, v0
	buffer_load_dwordx4 v[86:89], v1, s[72:75], 0 offen
	;; [unrolled: 3-line block ×3, first 2 shown]
	v_lshlrev_b32_e32 v1, 1, v0
	buffer_load_dwordx4 v[90:93], v1, s[72:75], 0 offen
	s_waitcnt vmcnt(5)
	v_lshlrev_b32_e32 v1, 1, v2
	buffer_load_dwordx4 v[22:25], v1, s[76:79], 0 offen
	v_add_u32_e32 v1, s68, v2
	v_lshlrev_b32_e32 v2, 1, v1
	v_add_u32_e32 v1, s68, v1
	buffer_load_dwordx4 v[18:21], v2, s[76:79], 0 offen
	v_lshlrev_b32_e32 v2, 1, v1
	v_add_u32_e32 v1, s68, v1
	buffer_load_dwordx4 v[66:69], v2, s[76:79], 0 offen
	;; [unrolled: 3-line block ×4, first 2 shown]
	v_add_u32_e32 v2, s90, v1
	v_lshlrev_b32_e32 v1, 1, v0
	v_add_u32_e32 v0, s89, v0
	buffer_load_dwordx4 v[94:97], v1, s[72:75], 0 offen
	v_lshlrev_b32_e32 v1, 1, v0
	v_add_u32_e32 v0, s89, v0
	buffer_load_dwordx4 v[98:101], v1, s[72:75], 0 offen
	;; [unrolled: 3-line block ×8, first 2 shown]
	v_lshlrev_b32_e32 v1, 1, v0
	v_add_u32_e32 v0, s89, v0
	v_add_u32_e32 v146, s89, v0
	buffer_load_dwordx4 v[126:129], v1, s[72:75], 0 offen
	v_lshlrev_b32_e32 v1, 1, v0
	v_lshlrev_b32_e32 v0, 1, v146
	v_add_u32_e32 v3, s90, v2
	buffer_load_dwordx4 v[34:37], v1, s[72:75], 0 offen
	buffer_load_dwordx4 v[78:81], v0, s[72:75], 0 offen
	v_lshlrev_b32_e32 v0, 1, v2
	v_add_u32_e32 v4, s90, v3
	buffer_load_dwordx4 v[42:45], v0, s[76:79], 0 offen
	v_lshlrev_b32_e32 v0, 1, v3
	v_add_u32_e32 v5, s90, v4
	;; [unrolled: 3-line block ×9, first 2 shown]
	buffer_load_dwordx4 v[130:133], v0, s[76:79], 0 offen
	v_lshlrev_b32_e32 v0, 1, v11
	buffer_load_dwordx4 v[62:65], v0, s[76:79], 0 offen
	v_lshlrev_b32_e32 v0, 1, v1
	buffer_load_dwordx4 v[54:57], v0, s[76:79], 0 offen
	s_cbranch_scc1 .LBB1_12
; %bb.13:
	s_waitcnt lgkmcnt(0)
	; wave barrier
	scratch_load_dword v4, off, off offset:332 ; 4-byte Folded Reload
	s_lshl_b64 s[0:1], s[86:87], 1
	s_add_u32 s4, s84, s0
	s_addc_u32 s5, s85, s1
	s_mul_i32 s0, s33, s69
	s_mul_hi_u32 s1, 0, s69
	s_add_i32 s2, s1, s0
	s_waitcnt vmcnt(0)
	ds_read_b128 v[0:3], v4
	ds_read_b128 v[4:7], v4 offset:16384
	scratch_load_dword v12, off, off offset:24 ; 4-byte Folded Reload
	s_waitcnt vmcnt(0)
	ds_read_b128 v[8:11], v12
	ds_read_b128 v[12:15], v12 offset:16384
	scratch_load_dword v20, off, off offset:344 ; 4-byte Folded Reload
	s_waitcnt vmcnt(0)
	ds_read_b128 v[16:19], v20
	ds_read_b128 v[20:23], v20 offset:16384
	scratch_load_dword v28, off, off offset:12 ; 4-byte Folded Reload
	s_waitcnt vmcnt(0)
	ds_read_b128 v[24:27], v28
	ds_read_b128 v[28:31], v28 offset:16384
	scratch_load_dword v36, off, off offset:340 ; 4-byte Folded Reload
	s_waitcnt vmcnt(0)
	ds_read_b128 v[32:35], v36
	ds_read_b128 v[36:39], v36 offset:16384
	scratch_load_dword v44, off, off offset:336 ; 4-byte Folded Reload
	s_waitcnt vmcnt(0)
	ds_read_b128 v[40:43], v44
	ds_read_b128 v[44:47], v44 offset:16384
	scratch_load_dword v52, off, off offset:4 ; 4-byte Folded Reload
	s_waitcnt vmcnt(0)
	ds_read_b128 v[48:51], v52
	ds_read_b128 v[52:55], v52 offset:16384
	scratch_load_dword v60, off, off        ; 4-byte Folded Reload
	s_waitcnt vmcnt(0)
	ds_read_b128 v[56:59], v60
	ds_read_b128 v[60:63], v60 offset:16384
	scratch_load_dword v68, off, off offset:44 ; 4-byte Folded Reload
	s_waitcnt vmcnt(0)
	ds_read_b128 v[64:67], v68 offset:8192
	ds_read_b128 v[68:71], v68 offset:24576
	scratch_load_dword v76, off, off offset:40 ; 4-byte Folded Reload
	s_waitcnt vmcnt(0)
	ds_read_b128 v[72:75], v76 offset:8192
	;; [unrolled: 4-line block ×8, first 2 shown]
	ds_read_b128 v[124:127], v124 offset:24576
	; sched_barrier mask(0x00000000)
	; wave barrier
	; sched_barrier mask(0x00000000)
	s_waitcnt lgkmcnt(14)
	v_mfma_f32_16x16x32_f16 v[128:131], v[0:3], v[4:7], v[160:163]
	; sched_barrier mask(0x00000000)
	s_setprio 1
	; sched_barrier mask(0x00000000)
	v_mfma_f32_16x16x32_f16 v[0:3], v[0:3], v[68:71], v[156:159]
	v_mfma_f32_16x16x32_f16 v[4:7], v[64:67], v[4:7], v[152:155]
	v_mfma_f32_16x16x32_f16 v[64:67], v[64:67], v[68:71], v[148:151]
	v_mfma_f32_16x16x32_f16 v[68:71], v[8:11], v[12:15], v[128:131]
	s_waitcnt lgkmcnt(12)
	v_mfma_f32_16x16x32_f16 v[0:3], v[8:11], v[76:79], v[0:3]
	v_mfma_f32_16x16x32_f16 v[4:7], v[72:75], v[12:15], v[4:7]
	v_mfma_f32_16x16x32_f16 v[8:11], v[72:75], v[76:79], v[64:67]
	v_mfma_f32_16x16x32_f16 v[12:15], v[16:19], v[20:23], v[68:71]
	s_waitcnt lgkmcnt(10)
	;; [unrolled: 5-line block ×7, first 2 shown]
	v_mfma_f32_16x16x32_f16 v[0:3], v[56:59], v[124:127], v[0:3]
	v_mfma_f32_16x16x32_f16 v[4:7], v[120:123], v[60:63], v[4:7]
	; sched_barrier mask(0x00000000)
	s_waitcnt lgkmcnt(0)
	; wave barrier
	; sched_barrier mask(0x00000000)
	v_mfma_f32_16x16x32_f16 v[8:11], v[120:123], v[124:127], v[8:11]
	; sched_barrier mask(0x00000000)
	s_setprio 0
	; sched_barrier mask(0x00000000)
	scratch_load_dword v16, off, off offset:472 ; 4-byte Folded Reload
	s_nop 0
	v_cvt_f16_f32_e32 v12, v12
	v_cvt_f16_f32_e32 v13, v13
	;; [unrolled: 1-line block ×4, first 2 shown]
	s_add_i32 s2, s65, s2
	v_cvt_f16_f32_e32 v0, v0
	s_lshl_b32 s6, s2, 1
	v_cvt_f16_f32_e32 v1, v1
	v_cvt_f16_f32_e32 v2, v2
	s_mov_b32 s7, 0x20000
	v_cvt_f16_f32_e32 v3, v3
	s_lshl_b32 s8, s69, 4
	s_waitcnt vmcnt(0)
	v_lshrrev_b32_e32 v17, 2, v16
	scratch_load_dword v16, off, off offset:484 ; 4-byte Folded Reload
	v_lshl_or_b32 v21, s88, 5, v17
	s_waitcnt lgkmcnt(0)
	; wave barrier
	scratch_load_dword v22, off, off offset:480 ; 4-byte Folded Reload
	s_waitcnt vmcnt(1)
	v_and_b32_e32 v20, 12, v16
	v_or_b32_e32 v16, s66, v20
	v_mad_u64_u32 v[18:19], s[0:1], v21, s69, v[16:17]
	scratch_load_dword v19, off, off offset:476 ; 4-byte Folded Reload
	v_cmp_gt_i32_e32 vcc, s65, v16
	v_cmp_gt_i32_e64 s[0:1], s64, v21
	s_and_b64 s[2:3], s[0:1], vcc
	s_waitcnt vmcnt(0)
	v_lshlrev_b32_e32 v19, 1, v19
	v_lshl_add_u32 v19, v22, 1, v19
	ds_write_b16 v19, v12
	ds_write_b16 v19, v13 offset:32
	ds_write_b16 v19, v14 offset:64
	;; [unrolled: 1-line block ×3, first 2 shown]
	v_lshlrev_b32_e32 v12, 1, v20
	v_lshl_or_b32 v14, v17, 5, v12
	s_waitcnt lgkmcnt(0)
	; wave barrier
	ds_read_b64 v[12:13], v14
	v_bfrev_b32_e32 v15, 1
	v_cndmask_b32_e64 v17, v15, 0, s[2:3]
	v_lshl_add_u32 v17, v18, 1, v17
	s_waitcnt lgkmcnt(0)
	buffer_atomic_pk_add_f16 v12, v17, s[4:7], 0 offen
	buffer_atomic_pk_add_f16 v13, v17, s[4:7], 4 offen
	v_or_b32_e32 v12, 16, v16
	s_waitcnt lgkmcnt(0)
	; wave barrier
	ds_write_b16 v19, v0
	ds_write_b16 v19, v1 offset:32
	ds_write_b16 v19, v2 offset:64
	;; [unrolled: 1-line block ×3, first 2 shown]
	s_waitcnt lgkmcnt(0)
	; wave barrier
	ds_read_b64 v[0:1], v14
	v_cmp_gt_i32_e64 s[2:3], s65, v12
	s_and_b64 s[0:1], s[0:1], s[2:3]
	v_add_u32_e32 v13, 16, v18
	v_cndmask_b32_e64 v2, v15, 0, s[0:1]
	v_lshl_add_u32 v2, v13, 1, v2
	s_waitcnt lgkmcnt(0)
	buffer_atomic_pk_add_f16 v0, v2, s[4:7], 0 offen
	buffer_atomic_pk_add_f16 v1, v2, s[4:7], 4 offen
	v_cvt_f16_f32_e32 v0, v8
	v_cvt_f16_f32_e32 v1, v9
	;; [unrolled: 1-line block ×4, first 2 shown]
	v_or_b32_e32 v2, 16, v21
	s_waitcnt lgkmcnt(0)
	; wave barrier
	ds_write_b16 v19, v0
	ds_write_b16 v19, v1 offset:32
	ds_write_b16 v19, v8 offset:64
	;; [unrolled: 1-line block ×3, first 2 shown]
	s_waitcnt lgkmcnt(0)
	; wave barrier
	ds_read_b64 v[0:1], v14
	v_cmp_gt_i32_e64 s[0:1], s64, v2
	s_and_b64 s[2:3], s[0:1], s[2:3]
	v_add_u32_e32 v3, s8, v13
	v_cndmask_b32_e64 v2, v15, 0, s[2:3]
	v_lshl_add_u32 v2, v3, 1, v2
	s_waitcnt lgkmcnt(0)
	buffer_atomic_pk_add_f16 v0, v2, s[4:7], 0 offen
	buffer_atomic_pk_add_f16 v1, v2, s[4:7], 4 offen
	v_cvt_f16_f32_e32 v0, v4
	v_cvt_f16_f32_e32 v1, v5
	;; [unrolled: 1-line block ×4, first 2 shown]
	s_waitcnt lgkmcnt(0)
	; wave barrier
	ds_write_b16 v19, v0
	ds_write_b16 v19, v1 offset:32
	ds_write_b16 v19, v2 offset:64
	;; [unrolled: 1-line block ×3, first 2 shown]
	s_waitcnt lgkmcnt(0)
	; wave barrier
	ds_read_b64 v[0:1], v14
	s_and_b64 s[0:1], vcc, s[0:1]
	v_add_u32_e32 v2, s8, v18
	v_cndmask_b32_e64 v3, v15, 0, s[0:1]
	v_lshl_add_u32 v2, v2, 1, v3
	s_waitcnt lgkmcnt(0)
	buffer_atomic_pk_add_f16 v0, v2, s[4:7], 0 offen
	buffer_atomic_pk_add_f16 v1, v2, s[4:7], 4 offen
	s_endpgm
	.section	.rodata,"a",@progbits
	.p2align	6, 0x0
	.amdhsa_kernel _ZN2ck27kernel_gemm_xdl_cshuffle_v3INS_28GridwiseGemm_xdl_cshuffle_v3INS_13tensor_layout4gemm8RowMajorENS3_11ColumnMajorES4_DF16_DF16_fDF16_DF16_NS_16tensor_operation12element_wise11PassThroughES8_S8_LNS6_6device18GemmSpecializationE4ELi64ELi32ELi32ELi256ELi8ELi8ELi16ELi16ELi2ELi2ENS_8SequenceIJLi32ELi2ELi1EEEENSB_IJLi1ELi0ELi2EEEESD_Li2ELi8ELi8ELb0ELi0ESC_SD_SD_Li2ELi8ELi8ELb0ELi0ELi1ELi1ENSB_IJLi1ELi16ELi1ELi4EEEELi4ELNS_26BlockGemmPipelineSchedulerE1ELNS_24BlockGemmPipelineVersionE1EDF16_DF16_Lb0ELb0ELb0ELi0ELb0EEELb1ELNS_25InMemoryDataOperationEnumE1ELi2ELNS_10TailNumberE2EEEvNT_8ArgumentE
		.amdhsa_group_segment_fixed_size 32768
		.amdhsa_private_segment_fixed_size 492
		.amdhsa_kernarg_size 112
		.amdhsa_user_sgpr_count 2
		.amdhsa_user_sgpr_dispatch_ptr 0
		.amdhsa_user_sgpr_queue_ptr 0
		.amdhsa_user_sgpr_kernarg_segment_ptr 1
		.amdhsa_user_sgpr_dispatch_id 0
		.amdhsa_user_sgpr_kernarg_preload_length 0
		.amdhsa_user_sgpr_kernarg_preload_offset 0
		.amdhsa_user_sgpr_private_segment_size 0
		.amdhsa_uses_dynamic_stack 0
		.amdhsa_enable_private_segment 1
		.amdhsa_system_sgpr_workgroup_id_x 1
		.amdhsa_system_sgpr_workgroup_id_y 0
		.amdhsa_system_sgpr_workgroup_id_z 1
		.amdhsa_system_sgpr_workgroup_info 0
		.amdhsa_system_vgpr_workitem_id 0
		.amdhsa_next_free_vgpr 256
		.amdhsa_next_free_sgpr 96
		.amdhsa_accum_offset 256
		.amdhsa_reserve_vcc 1
		.amdhsa_float_round_mode_32 0
		.amdhsa_float_round_mode_16_64 0
		.amdhsa_float_denorm_mode_32 3
		.amdhsa_float_denorm_mode_16_64 3
		.amdhsa_dx10_clamp 1
		.amdhsa_ieee_mode 1
		.amdhsa_fp16_overflow 0
		.amdhsa_tg_split 0
		.amdhsa_exception_fp_ieee_invalid_op 0
		.amdhsa_exception_fp_denorm_src 0
		.amdhsa_exception_fp_ieee_div_zero 0
		.amdhsa_exception_fp_ieee_overflow 0
		.amdhsa_exception_fp_ieee_underflow 0
		.amdhsa_exception_fp_ieee_inexact 0
		.amdhsa_exception_int_div_zero 0
	.end_amdhsa_kernel
	.section	.text._ZN2ck27kernel_gemm_xdl_cshuffle_v3INS_28GridwiseGemm_xdl_cshuffle_v3INS_13tensor_layout4gemm8RowMajorENS3_11ColumnMajorES4_DF16_DF16_fDF16_DF16_NS_16tensor_operation12element_wise11PassThroughES8_S8_LNS6_6device18GemmSpecializationE4ELi64ELi32ELi32ELi256ELi8ELi8ELi16ELi16ELi2ELi2ENS_8SequenceIJLi32ELi2ELi1EEEENSB_IJLi1ELi0ELi2EEEESD_Li2ELi8ELi8ELb0ELi0ESC_SD_SD_Li2ELi8ELi8ELb0ELi0ELi1ELi1ENSB_IJLi1ELi16ELi1ELi4EEEELi4ELNS_26BlockGemmPipelineSchedulerE1ELNS_24BlockGemmPipelineVersionE1EDF16_DF16_Lb0ELb0ELb0ELi0ELb0EEELb1ELNS_25InMemoryDataOperationEnumE1ELi2ELNS_10TailNumberE2EEEvNT_8ArgumentE,"axG",@progbits,_ZN2ck27kernel_gemm_xdl_cshuffle_v3INS_28GridwiseGemm_xdl_cshuffle_v3INS_13tensor_layout4gemm8RowMajorENS3_11ColumnMajorES4_DF16_DF16_fDF16_DF16_NS_16tensor_operation12element_wise11PassThroughES8_S8_LNS6_6device18GemmSpecializationE4ELi64ELi32ELi32ELi256ELi8ELi8ELi16ELi16ELi2ELi2ENS_8SequenceIJLi32ELi2ELi1EEEENSB_IJLi1ELi0ELi2EEEESD_Li2ELi8ELi8ELb0ELi0ESC_SD_SD_Li2ELi8ELi8ELb0ELi0ELi1ELi1ENSB_IJLi1ELi16ELi1ELi4EEEELi4ELNS_26BlockGemmPipelineSchedulerE1ELNS_24BlockGemmPipelineVersionE1EDF16_DF16_Lb0ELb0ELb0ELi0ELb0EEELb1ELNS_25InMemoryDataOperationEnumE1ELi2ELNS_10TailNumberE2EEEvNT_8ArgumentE,comdat
.Lfunc_end1:
	.size	_ZN2ck27kernel_gemm_xdl_cshuffle_v3INS_28GridwiseGemm_xdl_cshuffle_v3INS_13tensor_layout4gemm8RowMajorENS3_11ColumnMajorES4_DF16_DF16_fDF16_DF16_NS_16tensor_operation12element_wise11PassThroughES8_S8_LNS6_6device18GemmSpecializationE4ELi64ELi32ELi32ELi256ELi8ELi8ELi16ELi16ELi2ELi2ENS_8SequenceIJLi32ELi2ELi1EEEENSB_IJLi1ELi0ELi2EEEESD_Li2ELi8ELi8ELb0ELi0ESC_SD_SD_Li2ELi8ELi8ELb0ELi0ELi1ELi1ENSB_IJLi1ELi16ELi1ELi4EEEELi4ELNS_26BlockGemmPipelineSchedulerE1ELNS_24BlockGemmPipelineVersionE1EDF16_DF16_Lb0ELb0ELb0ELi0ELb0EEELb1ELNS_25InMemoryDataOperationEnumE1ELi2ELNS_10TailNumberE2EEEvNT_8ArgumentE, .Lfunc_end1-_ZN2ck27kernel_gemm_xdl_cshuffle_v3INS_28GridwiseGemm_xdl_cshuffle_v3INS_13tensor_layout4gemm8RowMajorENS3_11ColumnMajorES4_DF16_DF16_fDF16_DF16_NS_16tensor_operation12element_wise11PassThroughES8_S8_LNS6_6device18GemmSpecializationE4ELi64ELi32ELi32ELi256ELi8ELi8ELi16ELi16ELi2ELi2ENS_8SequenceIJLi32ELi2ELi1EEEENSB_IJLi1ELi0ELi2EEEESD_Li2ELi8ELi8ELb0ELi0ESC_SD_SD_Li2ELi8ELi8ELb0ELi0ELi1ELi1ENSB_IJLi1ELi16ELi1ELi4EEEELi4ELNS_26BlockGemmPipelineSchedulerE1ELNS_24BlockGemmPipelineVersionE1EDF16_DF16_Lb0ELb0ELb0ELi0ELb0EEELb1ELNS_25InMemoryDataOperationEnumE1ELi2ELNS_10TailNumberE2EEEvNT_8ArgumentE
                                        ; -- End function
	.set _ZN2ck27kernel_gemm_xdl_cshuffle_v3INS_28GridwiseGemm_xdl_cshuffle_v3INS_13tensor_layout4gemm8RowMajorENS3_11ColumnMajorES4_DF16_DF16_fDF16_DF16_NS_16tensor_operation12element_wise11PassThroughES8_S8_LNS6_6device18GemmSpecializationE4ELi64ELi32ELi32ELi256ELi8ELi8ELi16ELi16ELi2ELi2ENS_8SequenceIJLi32ELi2ELi1EEEENSB_IJLi1ELi0ELi2EEEESD_Li2ELi8ELi8ELb0ELi0ESC_SD_SD_Li2ELi8ELi8ELb0ELi0ELi1ELi1ENSB_IJLi1ELi16ELi1ELi4EEEELi4ELNS_26BlockGemmPipelineSchedulerE1ELNS_24BlockGemmPipelineVersionE1EDF16_DF16_Lb0ELb0ELb0ELi0ELb0EEELb1ELNS_25InMemoryDataOperationEnumE1ELi2ELNS_10TailNumberE2EEEvNT_8ArgumentE.num_vgpr, 256
	.set _ZN2ck27kernel_gemm_xdl_cshuffle_v3INS_28GridwiseGemm_xdl_cshuffle_v3INS_13tensor_layout4gemm8RowMajorENS3_11ColumnMajorES4_DF16_DF16_fDF16_DF16_NS_16tensor_operation12element_wise11PassThroughES8_S8_LNS6_6device18GemmSpecializationE4ELi64ELi32ELi32ELi256ELi8ELi8ELi16ELi16ELi2ELi2ENS_8SequenceIJLi32ELi2ELi1EEEENSB_IJLi1ELi0ELi2EEEESD_Li2ELi8ELi8ELb0ELi0ESC_SD_SD_Li2ELi8ELi8ELb0ELi0ELi1ELi1ENSB_IJLi1ELi16ELi1ELi4EEEELi4ELNS_26BlockGemmPipelineSchedulerE1ELNS_24BlockGemmPipelineVersionE1EDF16_DF16_Lb0ELb0ELb0ELi0ELb0EEELb1ELNS_25InMemoryDataOperationEnumE1ELi2ELNS_10TailNumberE2EEEvNT_8ArgumentE.num_agpr, 0
	.set _ZN2ck27kernel_gemm_xdl_cshuffle_v3INS_28GridwiseGemm_xdl_cshuffle_v3INS_13tensor_layout4gemm8RowMajorENS3_11ColumnMajorES4_DF16_DF16_fDF16_DF16_NS_16tensor_operation12element_wise11PassThroughES8_S8_LNS6_6device18GemmSpecializationE4ELi64ELi32ELi32ELi256ELi8ELi8ELi16ELi16ELi2ELi2ENS_8SequenceIJLi32ELi2ELi1EEEENSB_IJLi1ELi0ELi2EEEESD_Li2ELi8ELi8ELb0ELi0ESC_SD_SD_Li2ELi8ELi8ELb0ELi0ELi1ELi1ENSB_IJLi1ELi16ELi1ELi4EEEELi4ELNS_26BlockGemmPipelineSchedulerE1ELNS_24BlockGemmPipelineVersionE1EDF16_DF16_Lb0ELb0ELb0ELi0ELb0EEELb1ELNS_25InMemoryDataOperationEnumE1ELi2ELNS_10TailNumberE2EEEvNT_8ArgumentE.numbered_sgpr, 95
	.set _ZN2ck27kernel_gemm_xdl_cshuffle_v3INS_28GridwiseGemm_xdl_cshuffle_v3INS_13tensor_layout4gemm8RowMajorENS3_11ColumnMajorES4_DF16_DF16_fDF16_DF16_NS_16tensor_operation12element_wise11PassThroughES8_S8_LNS6_6device18GemmSpecializationE4ELi64ELi32ELi32ELi256ELi8ELi8ELi16ELi16ELi2ELi2ENS_8SequenceIJLi32ELi2ELi1EEEENSB_IJLi1ELi0ELi2EEEESD_Li2ELi8ELi8ELb0ELi0ESC_SD_SD_Li2ELi8ELi8ELb0ELi0ELi1ELi1ENSB_IJLi1ELi16ELi1ELi4EEEELi4ELNS_26BlockGemmPipelineSchedulerE1ELNS_24BlockGemmPipelineVersionE1EDF16_DF16_Lb0ELb0ELb0ELi0ELb0EEELb1ELNS_25InMemoryDataOperationEnumE1ELi2ELNS_10TailNumberE2EEEvNT_8ArgumentE.num_named_barrier, 0
	.set _ZN2ck27kernel_gemm_xdl_cshuffle_v3INS_28GridwiseGemm_xdl_cshuffle_v3INS_13tensor_layout4gemm8RowMajorENS3_11ColumnMajorES4_DF16_DF16_fDF16_DF16_NS_16tensor_operation12element_wise11PassThroughES8_S8_LNS6_6device18GemmSpecializationE4ELi64ELi32ELi32ELi256ELi8ELi8ELi16ELi16ELi2ELi2ENS_8SequenceIJLi32ELi2ELi1EEEENSB_IJLi1ELi0ELi2EEEESD_Li2ELi8ELi8ELb0ELi0ESC_SD_SD_Li2ELi8ELi8ELb0ELi0ELi1ELi1ENSB_IJLi1ELi16ELi1ELi4EEEELi4ELNS_26BlockGemmPipelineSchedulerE1ELNS_24BlockGemmPipelineVersionE1EDF16_DF16_Lb0ELb0ELb0ELi0ELb0EEELb1ELNS_25InMemoryDataOperationEnumE1ELi2ELNS_10TailNumberE2EEEvNT_8ArgumentE.private_seg_size, 492
	.set _ZN2ck27kernel_gemm_xdl_cshuffle_v3INS_28GridwiseGemm_xdl_cshuffle_v3INS_13tensor_layout4gemm8RowMajorENS3_11ColumnMajorES4_DF16_DF16_fDF16_DF16_NS_16tensor_operation12element_wise11PassThroughES8_S8_LNS6_6device18GemmSpecializationE4ELi64ELi32ELi32ELi256ELi8ELi8ELi16ELi16ELi2ELi2ENS_8SequenceIJLi32ELi2ELi1EEEENSB_IJLi1ELi0ELi2EEEESD_Li2ELi8ELi8ELb0ELi0ESC_SD_SD_Li2ELi8ELi8ELb0ELi0ELi1ELi1ENSB_IJLi1ELi16ELi1ELi4EEEELi4ELNS_26BlockGemmPipelineSchedulerE1ELNS_24BlockGemmPipelineVersionE1EDF16_DF16_Lb0ELb0ELb0ELi0ELb0EEELb1ELNS_25InMemoryDataOperationEnumE1ELi2ELNS_10TailNumberE2EEEvNT_8ArgumentE.uses_vcc, 1
	.set _ZN2ck27kernel_gemm_xdl_cshuffle_v3INS_28GridwiseGemm_xdl_cshuffle_v3INS_13tensor_layout4gemm8RowMajorENS3_11ColumnMajorES4_DF16_DF16_fDF16_DF16_NS_16tensor_operation12element_wise11PassThroughES8_S8_LNS6_6device18GemmSpecializationE4ELi64ELi32ELi32ELi256ELi8ELi8ELi16ELi16ELi2ELi2ENS_8SequenceIJLi32ELi2ELi1EEEENSB_IJLi1ELi0ELi2EEEESD_Li2ELi8ELi8ELb0ELi0ESC_SD_SD_Li2ELi8ELi8ELb0ELi0ELi1ELi1ENSB_IJLi1ELi16ELi1ELi4EEEELi4ELNS_26BlockGemmPipelineSchedulerE1ELNS_24BlockGemmPipelineVersionE1EDF16_DF16_Lb0ELb0ELb0ELi0ELb0EEELb1ELNS_25InMemoryDataOperationEnumE1ELi2ELNS_10TailNumberE2EEEvNT_8ArgumentE.uses_flat_scratch, 0
	.set _ZN2ck27kernel_gemm_xdl_cshuffle_v3INS_28GridwiseGemm_xdl_cshuffle_v3INS_13tensor_layout4gemm8RowMajorENS3_11ColumnMajorES4_DF16_DF16_fDF16_DF16_NS_16tensor_operation12element_wise11PassThroughES8_S8_LNS6_6device18GemmSpecializationE4ELi64ELi32ELi32ELi256ELi8ELi8ELi16ELi16ELi2ELi2ENS_8SequenceIJLi32ELi2ELi1EEEENSB_IJLi1ELi0ELi2EEEESD_Li2ELi8ELi8ELb0ELi0ESC_SD_SD_Li2ELi8ELi8ELb0ELi0ELi1ELi1ENSB_IJLi1ELi16ELi1ELi4EEEELi4ELNS_26BlockGemmPipelineSchedulerE1ELNS_24BlockGemmPipelineVersionE1EDF16_DF16_Lb0ELb0ELb0ELi0ELb0EEELb1ELNS_25InMemoryDataOperationEnumE1ELi2ELNS_10TailNumberE2EEEvNT_8ArgumentE.has_dyn_sized_stack, 0
	.set _ZN2ck27kernel_gemm_xdl_cshuffle_v3INS_28GridwiseGemm_xdl_cshuffle_v3INS_13tensor_layout4gemm8RowMajorENS3_11ColumnMajorES4_DF16_DF16_fDF16_DF16_NS_16tensor_operation12element_wise11PassThroughES8_S8_LNS6_6device18GemmSpecializationE4ELi64ELi32ELi32ELi256ELi8ELi8ELi16ELi16ELi2ELi2ENS_8SequenceIJLi32ELi2ELi1EEEENSB_IJLi1ELi0ELi2EEEESD_Li2ELi8ELi8ELb0ELi0ESC_SD_SD_Li2ELi8ELi8ELb0ELi0ELi1ELi1ENSB_IJLi1ELi16ELi1ELi4EEEELi4ELNS_26BlockGemmPipelineSchedulerE1ELNS_24BlockGemmPipelineVersionE1EDF16_DF16_Lb0ELb0ELb0ELi0ELb0EEELb1ELNS_25InMemoryDataOperationEnumE1ELi2ELNS_10TailNumberE2EEEvNT_8ArgumentE.has_recursion, 0
	.set _ZN2ck27kernel_gemm_xdl_cshuffle_v3INS_28GridwiseGemm_xdl_cshuffle_v3INS_13tensor_layout4gemm8RowMajorENS3_11ColumnMajorES4_DF16_DF16_fDF16_DF16_NS_16tensor_operation12element_wise11PassThroughES8_S8_LNS6_6device18GemmSpecializationE4ELi64ELi32ELi32ELi256ELi8ELi8ELi16ELi16ELi2ELi2ENS_8SequenceIJLi32ELi2ELi1EEEENSB_IJLi1ELi0ELi2EEEESD_Li2ELi8ELi8ELb0ELi0ESC_SD_SD_Li2ELi8ELi8ELb0ELi0ELi1ELi1ENSB_IJLi1ELi16ELi1ELi4EEEELi4ELNS_26BlockGemmPipelineSchedulerE1ELNS_24BlockGemmPipelineVersionE1EDF16_DF16_Lb0ELb0ELb0ELi0ELb0EEELb1ELNS_25InMemoryDataOperationEnumE1ELi2ELNS_10TailNumberE2EEEvNT_8ArgumentE.has_indirect_call, 0
	.section	.AMDGPU.csdata,"",@progbits
; Kernel info:
; codeLenInByte = 13240
; TotalNumSgprs: 101
; NumVgprs: 256
; NumAgprs: 0
; TotalNumVgprs: 256
; ScratchSize: 492
; MemoryBound: 0
; FloatMode: 240
; IeeeMode: 1
; LDSByteSize: 32768 bytes/workgroup (compile time only)
; SGPRBlocks: 12
; VGPRBlocks: 31
; NumSGPRsForWavesPerEU: 102
; NumVGPRsForWavesPerEU: 256
; AccumOffset: 256
; Occupancy: 2
; WaveLimiterHint : 0
; COMPUTE_PGM_RSRC2:SCRATCH_EN: 1
; COMPUTE_PGM_RSRC2:USER_SGPR: 2
; COMPUTE_PGM_RSRC2:TRAP_HANDLER: 0
; COMPUTE_PGM_RSRC2:TGID_X_EN: 1
; COMPUTE_PGM_RSRC2:TGID_Y_EN: 0
; COMPUTE_PGM_RSRC2:TGID_Z_EN: 1
; COMPUTE_PGM_RSRC2:TIDIG_COMP_CNT: 0
; COMPUTE_PGM_RSRC3_GFX90A:ACCUM_OFFSET: 63
; COMPUTE_PGM_RSRC3_GFX90A:TG_SPLIT: 0
	.section	.text._ZN2ck27kernel_gemm_xdl_cshuffle_v3INS_28GridwiseGemm_xdl_cshuffle_v3INS_13tensor_layout4gemm8RowMajorENS3_11ColumnMajorES4_DF16_DF16_fDF16_DF16_NS_16tensor_operation12element_wise11PassThroughES8_S8_LNS6_6device18GemmSpecializationE4ELi64ELi32ELi32ELi256ELi8ELi8ELi16ELi16ELi2ELi2ENS_8SequenceIJLi32ELi2ELi1EEEENSB_IJLi1ELi0ELi2EEEESD_Li2ELi8ELi8ELb0ELi0ESC_SD_SD_Li2ELi8ELi8ELb0ELi0ELi1ELi1ENSB_IJLi1ELi16ELi1ELi4EEEELi4ELNS_26BlockGemmPipelineSchedulerE1ELNS_24BlockGemmPipelineVersionE1EDF16_DF16_Lb0ELb0ELb0ELi0ELb0EEELb1ELNS_25InMemoryDataOperationEnumE1ELi2ELNS_10TailNumberE10EEEvNT_8ArgumentE,"axG",@progbits,_ZN2ck27kernel_gemm_xdl_cshuffle_v3INS_28GridwiseGemm_xdl_cshuffle_v3INS_13tensor_layout4gemm8RowMajorENS3_11ColumnMajorES4_DF16_DF16_fDF16_DF16_NS_16tensor_operation12element_wise11PassThroughES8_S8_LNS6_6device18GemmSpecializationE4ELi64ELi32ELi32ELi256ELi8ELi8ELi16ELi16ELi2ELi2ENS_8SequenceIJLi32ELi2ELi1EEEENSB_IJLi1ELi0ELi2EEEESD_Li2ELi8ELi8ELb0ELi0ESC_SD_SD_Li2ELi8ELi8ELb0ELi0ELi1ELi1ENSB_IJLi1ELi16ELi1ELi4EEEELi4ELNS_26BlockGemmPipelineSchedulerE1ELNS_24BlockGemmPipelineVersionE1EDF16_DF16_Lb0ELb0ELb0ELi0ELb0EEELb1ELNS_25InMemoryDataOperationEnumE1ELi2ELNS_10TailNumberE10EEEvNT_8ArgumentE,comdat
	.protected	_ZN2ck27kernel_gemm_xdl_cshuffle_v3INS_28GridwiseGemm_xdl_cshuffle_v3INS_13tensor_layout4gemm8RowMajorENS3_11ColumnMajorES4_DF16_DF16_fDF16_DF16_NS_16tensor_operation12element_wise11PassThroughES8_S8_LNS6_6device18GemmSpecializationE4ELi64ELi32ELi32ELi256ELi8ELi8ELi16ELi16ELi2ELi2ENS_8SequenceIJLi32ELi2ELi1EEEENSB_IJLi1ELi0ELi2EEEESD_Li2ELi8ELi8ELb0ELi0ESC_SD_SD_Li2ELi8ELi8ELb0ELi0ELi1ELi1ENSB_IJLi1ELi16ELi1ELi4EEEELi4ELNS_26BlockGemmPipelineSchedulerE1ELNS_24BlockGemmPipelineVersionE1EDF16_DF16_Lb0ELb0ELb0ELi0ELb0EEELb1ELNS_25InMemoryDataOperationEnumE1ELi2ELNS_10TailNumberE10EEEvNT_8ArgumentE ; -- Begin function _ZN2ck27kernel_gemm_xdl_cshuffle_v3INS_28GridwiseGemm_xdl_cshuffle_v3INS_13tensor_layout4gemm8RowMajorENS3_11ColumnMajorES4_DF16_DF16_fDF16_DF16_NS_16tensor_operation12element_wise11PassThroughES8_S8_LNS6_6device18GemmSpecializationE4ELi64ELi32ELi32ELi256ELi8ELi8ELi16ELi16ELi2ELi2ENS_8SequenceIJLi32ELi2ELi1EEEENSB_IJLi1ELi0ELi2EEEESD_Li2ELi8ELi8ELb0ELi0ESC_SD_SD_Li2ELi8ELi8ELb0ELi0ELi1ELi1ENSB_IJLi1ELi16ELi1ELi4EEEELi4ELNS_26BlockGemmPipelineSchedulerE1ELNS_24BlockGemmPipelineVersionE1EDF16_DF16_Lb0ELb0ELb0ELi0ELb0EEELb1ELNS_25InMemoryDataOperationEnumE1ELi2ELNS_10TailNumberE10EEEvNT_8ArgumentE
	.globl	_ZN2ck27kernel_gemm_xdl_cshuffle_v3INS_28GridwiseGemm_xdl_cshuffle_v3INS_13tensor_layout4gemm8RowMajorENS3_11ColumnMajorES4_DF16_DF16_fDF16_DF16_NS_16tensor_operation12element_wise11PassThroughES8_S8_LNS6_6device18GemmSpecializationE4ELi64ELi32ELi32ELi256ELi8ELi8ELi16ELi16ELi2ELi2ENS_8SequenceIJLi32ELi2ELi1EEEENSB_IJLi1ELi0ELi2EEEESD_Li2ELi8ELi8ELb0ELi0ESC_SD_SD_Li2ELi8ELi8ELb0ELi0ELi1ELi1ENSB_IJLi1ELi16ELi1ELi4EEEELi4ELNS_26BlockGemmPipelineSchedulerE1ELNS_24BlockGemmPipelineVersionE1EDF16_DF16_Lb0ELb0ELb0ELi0ELb0EEELb1ELNS_25InMemoryDataOperationEnumE1ELi2ELNS_10TailNumberE10EEEvNT_8ArgumentE
	.p2align	8
	.type	_ZN2ck27kernel_gemm_xdl_cshuffle_v3INS_28GridwiseGemm_xdl_cshuffle_v3INS_13tensor_layout4gemm8RowMajorENS3_11ColumnMajorES4_DF16_DF16_fDF16_DF16_NS_16tensor_operation12element_wise11PassThroughES8_S8_LNS6_6device18GemmSpecializationE4ELi64ELi32ELi32ELi256ELi8ELi8ELi16ELi16ELi2ELi2ENS_8SequenceIJLi32ELi2ELi1EEEENSB_IJLi1ELi0ELi2EEEESD_Li2ELi8ELi8ELb0ELi0ESC_SD_SD_Li2ELi8ELi8ELb0ELi0ELi1ELi1ENSB_IJLi1ELi16ELi1ELi4EEEELi4ELNS_26BlockGemmPipelineSchedulerE1ELNS_24BlockGemmPipelineVersionE1EDF16_DF16_Lb0ELb0ELb0ELi0ELb0EEELb1ELNS_25InMemoryDataOperationEnumE1ELi2ELNS_10TailNumberE10EEEvNT_8ArgumentE,@function
_ZN2ck27kernel_gemm_xdl_cshuffle_v3INS_28GridwiseGemm_xdl_cshuffle_v3INS_13tensor_layout4gemm8RowMajorENS3_11ColumnMajorES4_DF16_DF16_fDF16_DF16_NS_16tensor_operation12element_wise11PassThroughES8_S8_LNS6_6device18GemmSpecializationE4ELi64ELi32ELi32ELi256ELi8ELi8ELi16ELi16ELi2ELi2ENS_8SequenceIJLi32ELi2ELi1EEEENSB_IJLi1ELi0ELi2EEEESD_Li2ELi8ELi8ELb0ELi0ESC_SD_SD_Li2ELi8ELi8ELb0ELi0ELi1ELi1ENSB_IJLi1ELi16ELi1ELi4EEEELi4ELNS_26BlockGemmPipelineSchedulerE1ELNS_24BlockGemmPipelineVersionE1EDF16_DF16_Lb0ELb0ELb0ELi0ELb0EEELb1ELNS_25InMemoryDataOperationEnumE1ELi2ELNS_10TailNumberE10EEEvNT_8ArgumentE: ; @_ZN2ck27kernel_gemm_xdl_cshuffle_v3INS_28GridwiseGemm_xdl_cshuffle_v3INS_13tensor_layout4gemm8RowMajorENS3_11ColumnMajorES4_DF16_DF16_fDF16_DF16_NS_16tensor_operation12element_wise11PassThroughES8_S8_LNS6_6device18GemmSpecializationE4ELi64ELi32ELi32ELi256ELi8ELi8ELi16ELi16ELi2ELi2ENS_8SequenceIJLi32ELi2ELi1EEEENSB_IJLi1ELi0ELi2EEEESD_Li2ELi8ELi8ELb0ELi0ESC_SD_SD_Li2ELi8ELi8ELb0ELi0ELi1ELi1ENSB_IJLi1ELi16ELi1ELi4EEEELi4ELNS_26BlockGemmPipelineSchedulerE1ELNS_24BlockGemmPipelineVersionE1EDF16_DF16_Lb0ELb0ELb0ELi0ELb0EEELb1ELNS_25InMemoryDataOperationEnumE1ELi2ELNS_10TailNumberE10EEEvNT_8ArgumentE
; %bb.0:
	s_load_dwordx8 s[64:71], s[0:1], 0x10
	s_load_dwordx2 s[84:85], s[0:1], 0x60
	s_load_dword s9, s[0:1], 0x68
	s_load_dword s8, s[0:1], 0x3c
	s_load_dwordx4 s[4:7], s[0:1], 0x50
	s_waitcnt lgkmcnt(0)
	s_cmp_gt_i32 s70, 1
	s_cselect_b64 s[10:11], -1, 0
	s_bitcmp1_b32 s9, 0
	s_cselect_b64 s[12:13], -1, 0
	s_and_b64 s[10:11], s[10:11], s[12:13]
	v_mov_b32_e32 v169, v0
	s_andn2_b64 vcc, exec, s[10:11]
	s_mov_b64 s[86:87], 0
	s_cbranch_vccnz .LBB2_2
; %bb.1:
	s_mul_i32 s9, s64, s3
	s_mul_i32 s86, s9, s65
	s_ashr_i32 s87, s86, 31
.LBB2_2:
	s_load_dword s9, s[0:1], 0x34
	s_add_i32 s71, s64, -1
	s_cmp_lt_u32 s71, 32
	s_mov_b32 s88, 0
	s_cbranch_scc1 .LBB2_6
; %bb.3:
	s_add_i32 s0, s65, -1
	s_cmp_lt_u32 s0, 32
	s_mov_b32 s0, 0
	s_cbranch_scc1 .LBB2_10
; %bb.4:
	s_add_i32 s0, s64, 31
	s_ashr_i32 s1, s0, 31
	s_lshr_b32 s1, s1, 27
	s_add_i32 s0, s0, s1
	s_ashr_i32 s11, s0, 5
	s_add_i32 s0, s65, 31
	s_ashr_i32 s1, s0, 31
	s_lshr_b32 s1, s1, 27
	s_add_i32 s0, s0, s1
	s_ashr_i32 s10, s0, 5
	s_mul_i32 s0, s10, s11
	s_add_i32 s1, s0, 7
	s_ashr_i32 s12, s1, 31
	s_lshr_b32 s12, s12, 29
	s_add_i32 s1, s1, s12
	s_ashr_i32 s12, s1, 3
	s_and_b32 s1, s1, -8
	s_sub_i32 s13, s0, s1
	s_ashr_i32 s0, s2, 31
	s_lshr_b32 s0, s0, 29
	s_add_i32 s15, s2, s0
	s_and_b32 s0, s15, -8
	s_add_i32 s13, s13, 8
	s_sub_i32 s14, s2, s0
	s_cmp_gt_i32 s14, s13
	s_cbranch_scc1 .LBB2_7
; %bb.5:
	s_mul_i32 s2, s12, s14
	s_ashr_i32 s0, s15, 3
	s_cbranch_execz .LBB2_8
	s_branch .LBB2_9
.LBB2_6:
	s_mov_b32 s33, 0
	s_branch .LBB2_11
.LBB2_7:
                                        ; implicit-def: $sgpr2
	s_ashr_i32 s0, s15, 3
.LBB2_8:
	s_add_i32 s1, s12, -1
	s_mul_i32 s1, s1, s14
	s_add_i32 s2, s13, s1
.LBB2_9:
	s_abs_i32 s1, s10
	v_cvt_f32_u32_e32 v0, s1
	s_sub_i32 s13, 0, s1
	s_add_i32 s0, s2, s0
	s_abs_i32 s12, s0
	v_rcp_iflag_f32_e32 v0, v0
	s_xor_b32 s2, s0, s10
	s_ashr_i32 s2, s2, 31
	v_mul_f32_e32 v0, 0x4f7ffffe, v0
	v_cvt_u32_f32_e32 v0, v0
	s_nop 0
	v_readfirstlane_b32 s14, v0
	s_mul_i32 s13, s13, s14
	s_mul_hi_u32 s13, s14, s13
	s_add_i32 s14, s14, s13
	s_mul_hi_u32 s13, s12, s14
	s_mul_i32 s14, s13, s1
	s_sub_i32 s12, s12, s14
	s_add_i32 s15, s13, 1
	s_sub_i32 s14, s12, s1
	s_cmp_ge_u32 s12, s1
	s_cselect_b32 s13, s15, s13
	s_cselect_b32 s12, s14, s12
	s_add_i32 s14, s13, 1
	s_cmp_ge_u32 s12, s1
	s_cselect_b32 s1, s14, s13
	s_xor_b32 s1, s1, s2
	s_lshr_b32 s12, s11, 30
	s_sub_i32 s1, s1, s2
	s_add_i32 s12, s11, s12
	s_mul_i32 s2, s1, s10
	s_sub_i32 s0, s0, s2
	s_and_b32 s2, s12, -4
	s_sub_i32 s11, s11, s2
	s_cmp_ge_i32 s1, s2
	s_cselect_b32 s2, s11, 4
	s_abs_i32 s12, s2
	v_cvt_f32_u32_e32 v0, s12
	s_ashr_i32 s11, s1, 31
	s_lshr_b32 s11, s11, 30
	s_add_i32 s11, s1, s11
	v_rcp_iflag_f32_e32 v0, v0
	s_and_b32 s11, s11, -4
	s_sub_i32 s11, s1, s11
	s_sub_i32 s14, 0, s12
	v_mul_f32_e32 v0, 0x4f7ffffe, v0
	v_cvt_u32_f32_e32 v0, v0
	s_mul_i32 s10, s11, s10
	s_add_i32 s10, s10, s0
	s_abs_i32 s13, s10
	v_readfirstlane_b32 s15, v0
	s_mul_i32 s14, s14, s15
	s_mul_hi_u32 s14, s15, s14
	s_add_i32 s15, s15, s14
	s_mul_hi_u32 s14, s13, s15
	s_mul_i32 s15, s14, s12
	s_xor_b32 s0, s10, s2
	s_sub_i32 s13, s13, s15
	s_ashr_i32 s0, s0, 31
	s_add_i32 s15, s14, 1
	s_sub_i32 s16, s13, s12
	s_cmp_ge_u32 s13, s12
	s_cselect_b32 s14, s15, s14
	s_cselect_b32 s13, s16, s13
	s_add_i32 s15, s14, 1
	s_cmp_ge_u32 s13, s12
	s_cselect_b32 s12, s15, s14
	s_xor_b32 s12, s12, s0
	s_sub_i32 s0, s12, s0
	s_mul_i32 s2, s0, s2
	s_sub_i32 s2, s10, s2
	s_add_i32 s2, s2, s1
	s_sub_i32 s2, s2, s11
.LBB2_10:
	s_mov_b32 s33, s2
	s_mov_b32 s2, s0
.LBB2_11:
	s_waitcnt lgkmcnt(0)
	s_mul_i32 s0, s9, s3
	s_ashr_i32 s1, s0, 31
	s_lshl_b64 s[0:1], s[0:1], 1
	s_add_u32 s72, s4, s0
	s_addc_u32 s4, s5, s1
	s_add_u32 s80, s6, s0
	s_addc_u32 s5, s7, s1
	s_add_i32 s0, s65, 0x7fffffff
	s_mul_i32 s7, s0, s68
	s_add_i32 s0, s70, -1
	s_mul_i32 s1, s0, s9
	s_sub_i32 s1, s66, s1
	v_lshrrev_b32_e32 v75, 1, v169
	s_cmp_lt_u32 s3, s0
	v_and_b32_e32 v66, 31, v169
	v_and_b32_e32 v67, 16, v75
	s_cselect_b32 s3, s9, s1
	s_lshl_b32 s66, s2, 5
	v_lshl_or_b32 v136, s33, 5, v67
	v_lshlrev_b32_e32 v0, 3, v66
	v_mad_u64_u32 v[2:3], s[0:1], v136, s67, v[0:1]
	v_bitop3_b32 v68, v75, v66, 16 bitop3:0x6c
	v_lshlrev_b32_e32 v1, 8, v67
	v_or_b32_e32 v138, s66, v67
	v_lshl_or_b32 v137, v68, 3, v1
	v_mad_u64_u32 v[0:1], s[0:1], v138, s68, v[0:1]
	s_ashr_i32 s0, s8, 31
	s_mul_i32 s6, s71, s67
	v_lshlrev_b32_e32 v1, 2, v169
	s_lshr_b32 s0, s0, 27
	scratch_store_dword off, v1, off offset:492 ; 4-byte Folded Spill
	v_and_b32_e32 v1, 0xc0, v1
	s_add_i32 s8, s8, s0
	s_add_i32 s0, s3, s6
	scratch_store_dword off, v1, off offset:488 ; 4-byte Folded Spill
	v_lshrrev_b32_e32 v69, 3, v1
	s_lshl_b32 s74, s0, 1
	s_and_b32 s73, s4, 0xffff
	s_mov_b32 s75, 0x20000
	v_lshlrev_b32_e32 v1, 1, v2
	v_add_u32_e32 v2, s67, v2
	v_lshlrev_b32_e32 v3, 1, v2
	buffer_load_dwordx4 v[70:73], v1, s[72:75], 0 offen
	buffer_load_dwordx4 v[76:79], v3, s[72:75], 0 offen
	v_add_u32_e32 v2, s67, v2
	v_lshlrev_b32_e32 v3, 1, v2
	v_add_u32_e32 v2, s67, v2
	v_lshlrev_b32_e32 v4, 1, v2
	buffer_load_dwordx4 v[80:83], v3, s[72:75], 0 offen
	buffer_load_dwordx4 v[84:87], v4, s[72:75], 0 offen
	v_add_u32_e32 v2, s67, v2
	;; [unrolled: 6-line block ×3, first 2 shown]
	v_lshlrev_b32_e32 v3, 1, v2
	v_add_u32_e32 v2, s67, v2
	v_lshlrev_b32_e32 v4, 1, v2
	v_add_u32_e32 v2, s67, v2
	buffer_load_dwordx4 v[96:99], v3, s[72:75], 0 offen
	buffer_load_dwordx4 v[100:103], v4, s[72:75], 0 offen
	v_lshlrev_b32_e32 v3, 1, v2
	v_add_u32_e32 v2, s67, v2
	v_lshlrev_b32_e32 v4, 1, v2
	v_add_u32_e32 v2, s67, v2
	buffer_load_dwordx4 v[104:107], v3, s[72:75], 0 offen
	buffer_load_dwordx4 v[108:111], v4, s[72:75], 0 offen
	;; [unrolled: 6-line block ×3, first 2 shown]
	v_lshlrev_b32_e32 v3, 1, v2
	v_add_u32_e32 v2, s67, v2
	v_lshlrev_b32_e32 v4, 1, v2
	v_add_u32_e32 v2, s67, v2
	v_add_u32_e32 v153, s67, v2
	buffer_load_dwordx4 v[120:123], v3, s[72:75], 0 offen
	buffer_load_dwordx4 v[124:127], v4, s[72:75], 0 offen
	v_lshlrev_b32_e32 v3, 1, v2
	v_lshlrev_b32_e32 v2, 1, v153
	buffer_load_dwordx4 v[128:131], v3, s[72:75], 0 offen
	buffer_load_dwordx4 v[132:135], v2, s[72:75], 0 offen
	s_add_i32 s3, s3, s7
	v_lshlrev_b32_e32 v2, 1, v0
	v_add_u32_e32 v0, s68, v0
	s_lshl_b32 s82, s3, 1
	s_and_b32 s81, s5, 0xffff
	s_mov_b32 s83, s75
	v_lshlrev_b32_e32 v3, 1, v0
	v_add_u32_e32 v0, s68, v0
	buffer_load_dwordx4 v[62:65], v2, s[80:83], 0 offen
	buffer_load_dwordx4 v[54:57], v3, s[80:83], 0 offen
	v_lshlrev_b32_e32 v2, 1, v0
	v_add_u32_e32 v0, s68, v0
	v_lshlrev_b32_e32 v3, 1, v0
	v_add_u32_e32 v0, s68, v0
	buffer_load_dwordx4 v[58:61], v2, s[80:83], 0 offen
	buffer_load_dwordx4 v[46:49], v3, s[80:83], 0 offen
	v_lshlrev_b32_e32 v2, 1, v0
	v_add_u32_e32 v0, s68, v0
	;; [unrolled: 6-line block ×7, first 2 shown]
	v_lshlrev_b32_e32 v3, 1, v0
	buffer_load_dwordx4 v[10:13], v2, s[80:83], 0 offen
	s_nop 0
	buffer_load_dwordx4 v[2:5], v3, s[80:83], 0 offen
	v_or_b32_e32 v1, 2, v136
	v_cmp_gt_i32_e64 s[4:5], s64, v136
	v_cmp_gt_i32_e64 s[0:1], s64, v1
	v_lshlrev_b32_e32 v1, 1, v137
	s_waitcnt vmcnt(31)
	v_cndmask_b32_e64 v73, 0, v73, s[4:5]
	v_cndmask_b32_e64 v72, 0, v72, s[4:5]
	;; [unrolled: 1-line block ×4, first 2 shown]
	ds_write_b128 v1, v[70:73]
	v_bitop3_b32 v70, v67, v66, 1 bitop3:0x36
	v_bitop3_b32 v72, v67, v66, 2 bitop3:0x36
	v_sub_u32_e32 v71, v70, v68
	v_sub_u32_e32 v70, v72, v70
	v_or_b32_e32 v139, 1, v136
	v_lshlrev_b32_e32 v73, 3, v70
	v_or_b32_e32 v140, 3, v136
	v_or_b32_e32 v141, 4, v136
	;; [unrolled: 1-line block ×13, first 2 shown]
	v_cmp_gt_i32_e32 vcc, s64, v139
	scratch_store_dword off, v73, off offset:372 ; 4-byte Folded Spill
	v_add_u32_e32 v136, 0x100, v73
	v_bitop3_b32 v73, v67, v66, 3 bitop3:0x36
	s_waitcnt vmcnt(31)
	v_cndmask_b32_e32 v79, 0, v79, vcc
	v_cndmask_b32_e32 v78, 0, v78, vcc
	;; [unrolled: 1-line block ×4, first 2 shown]
	v_cmp_gt_i32_e64 s[2:3], s64, v140
	v_lshlrev_b32_e32 v140, 3, v71
	v_lshl_add_u32 v71, v71, 4, v1
	v_sub_u32_e32 v72, v73, v72
	ds_write_b128 v71, v[76:79] offset:512
	v_lshlrev_b32_e32 v76, 3, v72
	v_lshlrev_b32_e32 v70, 4, v70
	s_movk_i32 s92, 0x200
	scratch_store_dword off, v76, off offset:376 ; 4-byte Folded Spill
	v_add_u32_e32 v139, 0x100, v76
	v_bitop3_b32 v76, v67, v66, 4 bitop3:0x36
	v_add3_u32 v70, v71, s92, v70
	v_lshlrev_b32_e32 v72, 4, v72
	v_sub_u32_e32 v73, v76, v73
	s_waitcnt vmcnt(31)
	v_cndmask_b32_e64 v83, 0, v83, s[0:1]
	v_cndmask_b32_e64 v82, 0, v82, s[0:1]
	;; [unrolled: 1-line block ×4, first 2 shown]
	s_waitcnt vmcnt(30)
	v_cndmask_b32_e64 v87, 0, v87, s[2:3]
	v_cndmask_b32_e64 v86, 0, v86, s[2:3]
	;; [unrolled: 1-line block ×4, first 2 shown]
	v_add3_u32 v72, v70, s92, v72
	v_lshlrev_b32_e32 v77, 3, v73
	ds_write_b128 v70, v[80:83] offset:512
	ds_write_b128 v72, v[84:87] offset:512
	scratch_store_dword off, v77, off offset:380 ; 4-byte Folded Spill
	v_add_u32_e32 v87, 0x100, v77
	v_bitop3_b32 v77, v67, v66, 5 bitop3:0x36
	v_cmp_gt_i32_e64 s[6:7], s64, v141
	v_lshlrev_b32_e32 v73, 4, v73
	v_sub_u32_e32 v76, v77, v76
	s_waitcnt vmcnt(30)
	v_cndmask_b32_e64 v91, 0, v91, s[6:7]
	v_cndmask_b32_e64 v90, 0, v90, s[6:7]
	;; [unrolled: 1-line block ×4, first 2 shown]
	v_add3_u32 v73, v72, s92, v73
	v_lshlrev_b32_e32 v78, 3, v76
	ds_write_b128 v73, v[88:91] offset:512
	scratch_store_dword off, v78, off offset:384 ; 4-byte Folded Spill
	v_add_u32_e32 v88, 0x100, v78
	v_bitop3_b32 v78, v67, v66, 6 bitop3:0x36
	v_sub_u32_e32 v77, v78, v77
	v_lshlrev_b32_e32 v79, 3, v77
	scratch_store_dword off, v79, off offset:388 ; 4-byte Folded Spill
	v_add_u32_e32 v89, 0x100, v79
	v_bitop3_b32 v79, v67, v66, 7 bitop3:0x36
	v_sub_u32_e32 v78, v79, v78
	v_lshlrev_b32_e32 v80, 3, v78
	;; [unrolled: 5-line block ×3, first 2 shown]
	scratch_store_dword off, v81, off offset:396 ; 4-byte Folded Spill
	v_add_u32_e32 v91, 0x100, v81
	v_bitop3_b32 v81, v67, v66, 9 bitop3:0x36
	s_ashr_i32 s93, s8, 5
	v_cmp_gt_i32_e64 s[8:9], s64, v142
	v_lshlrev_b32_e32 v76, 4, v76
	v_sub_u32_e32 v80, v81, v80
	s_waitcnt vmcnt(33)
	v_cndmask_b32_e64 v95, 0, v95, s[8:9]
	v_cndmask_b32_e64 v94, 0, v94, s[8:9]
	v_cndmask_b32_e64 v93, 0, v93, s[8:9]
	v_cndmask_b32_e64 v92, 0, v92, s[8:9]
	v_add3_u32 v76, v73, s92, v76
	v_lshlrev_b32_e32 v82, 3, v80
	ds_write_b128 v76, v[92:95] offset:512
	scratch_store_dword off, v82, off offset:400 ; 4-byte Folded Spill
	v_add_u32_e32 v92, 0x100, v82
	v_bitop3_b32 v82, v67, v66, 10 bitop3:0x36
	v_sub_u32_e32 v81, v82, v81
	v_lshlrev_b32_e32 v83, 3, v81
	scratch_store_dword off, v83, off offset:404 ; 4-byte Folded Spill
	v_add_u32_e32 v93, 0x100, v83
	v_bitop3_b32 v83, v67, v66, 11 bitop3:0x36
	v_sub_u32_e32 v82, v83, v82
	v_lshlrev_b32_e32 v77, 4, v77
	v_lshlrev_b32_e32 v84, 3, v82
	v_add3_u32 v77, v76, s92, v77
	v_lshlrev_b32_e32 v78, 4, v78
	scratch_store_dword off, v84, off offset:408 ; 4-byte Folded Spill
	v_add_u32_e32 v94, 0x100, v84
	v_bitop3_b32 v84, v67, v66, 12 bitop3:0x36
	v_add3_u32 v78, v77, s92, v78
	v_lshlrev_b32_e32 v79, 4, v79
	v_sub_u32_e32 v83, v84, v83
	v_add3_u32 v79, v78, s92, v79
	v_lshlrev_b32_e32 v80, 4, v80
	v_lshlrev_b32_e32 v85, 3, v83
	v_add3_u32 v80, v79, s92, v80
	v_lshlrev_b32_e32 v81, 4, v81
	scratch_store_dword off, v85, off offset:412 ; 4-byte Folded Spill
	v_add_u32_e32 v95, 0x100, v85
	v_bitop3_b32 v85, v67, v66, 13 bitop3:0x36
	v_cmp_gt_i32_e64 s[10:11], s64, v143
	v_cmp_gt_i32_e64 s[18:19], s64, v147
	v_add3_u32 v81, v80, s92, v81
	v_lshlrev_b32_e32 v82, 4, v82
	v_sub_u32_e32 v84, v85, v84
	v_bitop3_b32 v147, v67, v66, 14 bitop3:0x36
	s_waitcnt vmcnt(36)
	v_cndmask_b32_e64 v99, 0, v99, s[10:11]
	v_cndmask_b32_e64 v98, 0, v98, s[10:11]
	;; [unrolled: 1-line block ×4, first 2 shown]
	v_add3_u32 v82, v81, s92, v82
	v_lshlrev_b32_e32 v83, 4, v83
	v_lshlrev_b32_e32 v86, 3, v84
	v_sub_u32_e32 v85, v147, v85
	v_cmp_gt_i32_e64 s[12:13], s64, v144
	v_cmp_gt_i32_e64 s[14:15], s64, v145
	;; [unrolled: 1-line block ×6, first 2 shown]
	ds_write_b128 v77, v[96:99] offset:512
	v_add3_u32 v83, v82, s92, v83
	scratch_store_dword off, v86, off offset:416 ; 4-byte Folded Spill
	v_add_u32_e32 v96, 0x100, v86
	v_lshlrev_b32_e32 v84, 4, v84
	v_lshlrev_b32_e32 v86, 3, v85
	s_waitcnt vmcnt(36)
	v_cndmask_b32_e64 v103, 0, v103, s[12:13]
	v_cndmask_b32_e64 v102, 0, v102, s[12:13]
	v_cndmask_b32_e64 v101, 0, v101, s[12:13]
	v_cndmask_b32_e64 v100, 0, v100, s[12:13]
	s_waitcnt vmcnt(35)
	v_cndmask_b32_e64 v107, 0, v107, s[14:15]
	v_cndmask_b32_e64 v106, 0, v106, s[14:15]
	v_cndmask_b32_e64 v105, 0, v105, s[14:15]
	v_cndmask_b32_e64 v104, 0, v104, s[14:15]
	;; [unrolled: 5-line block ×7, first 2 shown]
	v_add3_u32 v84, v83, s92, v84
	scratch_store_dword off, v86, off offset:420 ; 4-byte Folded Spill
	v_add_u32_e32 v97, 0x100, v86
	v_add_u32_e32 v86, 0x100, v140
	ds_write_b128 v78, v[100:103] offset:512
	ds_write_b128 v79, v[104:107] offset:512
	ds_write_b128 v80, v[108:111] offset:512
	ds_write_b128 v81, v[112:115] offset:512
	ds_write_b128 v82, v[116:119] offset:512
	ds_write_b128 v83, v[120:123] offset:512
	ds_write_b128 v84, v[124:127] offset:512
	scratch_store_dword off, v140, off offset:356 ; 4-byte Folded Spill
	scratch_store_dword off, v136, off offset:428 ; 4-byte Folded Spill
	;; [unrolled: 1-line block ×3, first 2 shown]
	v_add_u32_e32 v86, v86, v136
	v_add3_u32 v86, v86, v139, v87
	v_add3_u32 v86, v86, v88, v89
	;; [unrolled: 1-line block ×5, first 2 shown]
	v_or_b32_e32 v75, 15, v75
	v_add3_u32 v148, v86, v96, v97
	v_bitop3_b32 v75, v75, 31, v169 bitop3:0x48
	v_or_b32_e32 v168, 15, v138
	s_mul_i32 s70, s67, -15
	scratch_store_dword off, v139, off offset:496 ; 4-byte Folded Spill
	scratch_store_dword off, v87, off offset:432 ; 4-byte Folded Spill
	v_add_u32_e32 v86, v148, v137
	v_lshlrev_b32_e32 v85, 4, v85
	v_sub_u32_e32 v87, v75, v147
	v_sub_u32_e32 v75, v68, v75
	v_or_b32_e32 v154, 1, v138
	v_or_b32_e32 v155, 2, v138
	;; [unrolled: 1-line block ×14, first 2 shown]
	s_addk_i32 s70, 0x100
	v_cmp_gt_i32_e64 s[26:27], s64, v151
	v_cmp_gt_i32_e64 s[28:29], s64, v152
	v_add3_u32 v85, v84, s92, v85
	v_lshl_add_u32 v86, v87, 3, v86
	v_lshlrev_b32_e32 v87, 4, v87
	v_lshlrev_b32_e32 v75, 3, v75
	s_movk_i32 s30, 0xf200
	v_cmp_gt_i32_e64 s[38:39], s65, v138
	v_cmp_gt_i32_e64 s[62:63], s65, v168
	v_add_u32_e32 v153, s70, v153
	s_waitcnt vmcnt(35)
	v_cndmask_b32_e64 v131, 0, v131, s[26:27]
	v_cndmask_b32_e64 v130, 0, v130, s[26:27]
	;; [unrolled: 1-line block ×4, first 2 shown]
	s_waitcnt vmcnt(34)
	v_cndmask_b32_e64 v135, 0, v135, s[28:29]
	v_cndmask_b32_e64 v134, 0, v134, s[28:29]
	;; [unrolled: 1-line block ×4, first 2 shown]
	v_add3_u32 v87, v85, s92, v87
	v_add3_u32 v75, v86, v75, s30
	s_waitcnt vmcnt(33)
	v_cndmask_b32_e64 v65, 0, v65, s[38:39]
	v_cndmask_b32_e64 v64, 0, v64, s[38:39]
	;; [unrolled: 1-line block ×4, first 2 shown]
	v_cmp_gt_i32_e64 s[30:31], s65, v154
	v_cmp_gt_i32_e64 s[34:35], s65, v155
	;; [unrolled: 1-line block ×14, first 2 shown]
	s_waitcnt vmcnt(18)
	v_cndmask_b32_e64 v2, 0, v2, s[62:63]
	scratch_store_dword off, v88, off offset:436 ; 4-byte Folded Spill
	scratch_store_dword off, v89, off offset:440 ; 4-byte Folded Spill
	;; [unrolled: 1-line block ×10, first 2 shown]
	ds_write_b128 v85, v[128:131] offset:512
	scratch_store_dword off, v169, off offset:480 ; 4-byte Folded Spill
	ds_write_b128 v87, v[132:135] offset:512
	v_cndmask_b32_e64 v57, 0, v57, s[30:31]
	v_cndmask_b32_e64 v56, 0, v56, s[30:31]
	;; [unrolled: 1-line block ×59, first 2 shown]
	ds_write_b128 v1, v[62:65] offset:16384
	ds_write_b128 v71, v[54:57] offset:16896
	;; [unrolled: 1-line block ×16, first 2 shown]
	v_lshlrev_b32_e32 v1, 1, v153
	v_add_u32_e32 v2, s67, v153
	s_mul_i32 s91, s68, -15
	v_lshlrev_b32_e32 v3, 1, v2
	buffer_load_dwordx4 v[138:141], v1, s[72:75], 0 offen
	buffer_load_dwordx4 v[126:129], v3, s[72:75], 0 offen
	v_add_u32_e32 v1, s67, v2
	s_addk_i32 s91, 0x100
	v_lshlrev_b32_e32 v2, 1, v1
	v_add_u32_e32 v1, s67, v1
	v_add_u32_e32 v0, s91, v0
	v_lshlrev_b32_e32 v3, 1, v1
	buffer_load_dwordx4 v[114:117], v2, s[72:75], 0 offen
	buffer_load_dwordx4 v[102:105], v3, s[72:75], 0 offen
	v_lshlrev_b32_e32 v3, 1, v0
	v_add_u32_e32 v0, s68, v0
	v_lshlrev_b32_e32 v4, 1, v0
	buffer_load_dwordx4 v[22:25], v3, s[80:83], 0 offen
	s_nop 0
	buffer_load_dwordx4 v[4:7], v4, s[80:83], 0 offen
	v_add_u32_e32 v0, s68, v0
	v_lshlrev_b32_e32 v3, 1, v0
	v_add_u32_e32 v0, s68, v0
	v_add_u32_e32 v1, s67, v1
	v_lshlrev_b32_e32 v2, 1, v1
	v_add_u32_e32 v1, s67, v1
	v_and_b32_e32 v170, 15, v169
	v_bitop3_b32 v74, v169, v69, 15 bitop3:0x6c
	s_mov_b32 s89, s67
	s_mov_b32 s90, s68
	;; [unrolled: 1-line block ×6, first 2 shown]
	s_waitcnt vmcnt(0)
	scratch_store_dwordx4 off, v[4:7], off offset:88 ; 16-byte Folded Spill
	buffer_load_dwordx4 v[6:9], v3, s[80:83], 0 offen
	s_nop 0
	v_lshlrev_b32_e32 v4, 1, v0
	v_add_u32_e32 v0, s68, v0
	v_lshlrev_b32_e32 v3, 1, v0
	v_add_u32_e32 v0, s68, v0
	s_waitcnt vmcnt(0)
	scratch_store_dwordx4 off, v[6:9], off offset:56 ; 16-byte Folded Spill
	buffer_load_dwordx4 v[4:7], v4, s[80:83], 0 offen
	s_waitcnt vmcnt(0)
	scratch_store_dwordx4 off, v[4:7], off offset:40 ; 16-byte Folded Spill
	s_nop 1
	v_lshlrev_b32_e32 v4, 1, v1
	v_add_u32_e32 v1, s67, v1
	buffer_load_dwordx4 v[118:121], v2, s[72:75], 0 offen
	buffer_load_dwordx4 v[14:17], v4, s[72:75], 0 offen
	v_lshlrev_b32_e32 v4, 1, v1
	v_add_u32_e32 v1, s67, v1
	v_lshlrev_b32_e32 v6, 1, v1
	v_add_u32_e32 v1, s67, v1
	buffer_load_dwordx4 v[134:137], v4, s[72:75], 0 offen
	buffer_load_dwordx4 v[130:133], v6, s[72:75], 0 offen
	v_lshlrev_b32_e32 v6, 1, v1
	v_add_u32_e32 v1, s67, v1
	v_lshlrev_b32_e32 v8, 1, v1
	v_add_u32_e32 v1, s67, v1
	buffer_load_dwordx4 v[122:125], v6, s[72:75], 0 offen
	buffer_load_dwordx4 v[110:113], v8, s[72:75], 0 offen
	v_lshlrev_b32_e32 v8, 1, v1
	v_add_u32_e32 v1, s67, v1
	v_add_u32_e32 v2, s68, v0
	v_lshlrev_b32_e32 v10, 1, v1
	v_add_u32_e32 v1, s67, v1
	v_add_u32_e32 v5, s68, v2
	buffer_load_dwordx4 v[106:109], v8, s[72:75], 0 offen
	buffer_load_dwordx4 v[98:101], v10, s[72:75], 0 offen
	v_lshlrev_b32_e32 v10, 1, v1
	v_add_u32_e32 v1, s67, v1
	v_add_u32_e32 v4, s68, v5
	v_lshlrev_b32_e32 v12, 1, v1
	v_add_u32_e32 v7, s68, v4
	buffer_load_dwordx4 v[94:97], v10, s[72:75], 0 offen
	buffer_load_dwordx4 v[90:93], v12, s[72:75], 0 offen
	v_add_u32_e32 v12, s67, v1
	v_add_u32_e32 v6, s68, v7
	v_lshlrev_b32_e32 v13, 1, v12
	v_add_u32_e32 v146, s67, v12
	v_lshlrev_b32_e32 v0, 1, v0
	;; [unrolled: 2-line block ×3, first 2 shown]
	buffer_load_dwordx4 v[86:89], v13, s[72:75], 0 offen
	buffer_load_dwordx4 v[82:85], v12, s[72:75], 0 offen
	;; [unrolled: 1-line block ×4, first 2 shown]
	v_lshlrev_b32_e32 v0, 1, v2
	v_add_u32_e32 v8, s68, v9
	v_lshlrev_b32_e32 v2, 1, v5
	buffer_load_dwordx4 v[70:73], v0, s[80:83], 0 offen
	buffer_load_dwordx4 v[62:65], v2, s[80:83], 0 offen
	v_lshlrev_b32_e32 v0, 1, v4
	v_add_u32_e32 v11, s68, v8
	v_lshlrev_b32_e32 v2, 1, v7
	buffer_load_dwordx4 v[54:57], v0, s[80:83], 0 offen
	buffer_load_dwordx4 v[50:53], v2, s[80:83], 0 offen
	;; [unrolled: 5-line block ×3, first 2 shown]
	v_lshlrev_b32_e32 v0, 1, v8
	v_lshlrev_b32_e32 v2, 1, v11
	buffer_load_dwordx4 v[34:37], v0, s[80:83], 0 offen
	buffer_load_dwordx4 v[26:29], v2, s[80:83], 0 offen
	v_lshlrev_b32_e32 v0, 1, v10
	buffer_load_dwordx4 v[4:7], v0, s[80:83], 0 offen
	v_add_u32_e32 v1, s68, v10
	v_lshlrev_b32_e32 v2, 1, v1
	v_lshlrev_b32_e32 v0, 9, v170
	v_lshl_or_b32 v32, v74, 4, v0
	v_bitop3_b32 v0, v69, v170, 1 bitop3:0x36
	v_sub_u32_e32 v0, v0, v74
	v_lshlrev_b32_e32 v0, 4, v0
	v_add_u32_e32 v0, v32, v0
	scratch_store_dword off, v0, off offset:352 ; 4-byte Folded Spill
	v_bitop3_b32 v8, v69, v170, 16 bitop3:0x1e
	v_or_b32_e32 v9, 16, v170
	v_sub_u32_e32 v8, v8, v74
	scratch_store_dword off, v170, off offset:484 ; 4-byte Folded Spill
	v_bitop3_b32 v10, v69, v9, 1 bitop3:0x36
	v_lshlrev_b32_e32 v8, 4, v8
	v_sub_u32_e32 v10, v10, v74
	v_bitop3_b32 v11, v69, v9, 2 bitop3:0x36
	v_lshlrev_b32_e32 v10, 4, v10
	v_sub_u32_e32 v11, v11, v74
	;; [unrolled: 3-line block ×7, first 2 shown]
	v_lshlrev_b32_e32 v9, 4, v9
	s_waitcnt vmcnt(2)
	scratch_store_dwordx4 off, v[4:7], off offset:120 ; 16-byte Folded Spill
	buffer_load_dwordx4 v[2:5], v2, s[80:83], 0 offen
	s_nop 0
	v_bitop3_b32 v6, v69, v170, 6 bitop3:0x36
	v_sub_u32_e32 v6, v6, v74
	v_bitop3_b32 v7, v69, v170, 7 bitop3:0x36
	v_lshlrev_b32_e32 v6, 4, v6
	v_sub_u32_e32 v7, v7, v74
	v_lshlrev_b32_e32 v7, 4, v7
	s_add_i32 s80, s93, -2
	s_waitcnt vmcnt(0)
	scratch_store_dwordx4 off, v[2:5], off offset:72 ; 16-byte Folded Spill
	s_nop 1
	v_bitop3_b32 v2, v69, v170, 2 bitop3:0x36
	v_sub_u32_e32 v2, v2, v74
	v_bitop3_b32 v3, v69, v170, 3 bitop3:0x36
	v_lshlrev_b32_e32 v2, 4, v2
	v_sub_u32_e32 v3, v3, v74
	v_bitop3_b32 v4, v69, v170, 4 bitop3:0x36
	v_lshlrev_b32_e32 v3, 4, v3
	v_sub_u32_e32 v4, v4, v74
	v_bitop3_b32 v5, v69, v170, 5 bitop3:0x36
	v_add_u32_e32 v0, v32, v2
	v_lshlrev_b32_e32 v4, 4, v4
	v_sub_u32_e32 v5, v5, v74
	scratch_store_dword off, v0, off offset:348 ; 4-byte Folded Spill
	v_add_u32_e32 v0, v32, v3
	v_lshlrev_b32_e32 v5, 4, v5
	scratch_store_dword off, v0, off offset:344 ; 4-byte Folded Spill
	v_add_u32_e32 v0, v32, v4
	scratch_store_dword off, v0, off offset:340 ; 4-byte Folded Spill
	v_add_u32_e32 v0, v32, v5
	;; [unrolled: 2-line block ×4, first 2 shown]
	scratch_store_dword off, v0, off        ; 4-byte Folded Spill
	v_bitop3_b32 v0, v67, v66, 15 bitop3:0x36
	v_sub_u32_e32 v2, v0, v147
	v_lshlrev_b32_e32 v2, 3, v2
	scratch_store_dword off, v2, off offset:360 ; 4-byte Folded Spill
	v_add_u32_e32 v3, 0x100, v2
	v_sub_u32_e32 v0, v68, v0
	v_mov_b32_e32 v2, 0xfffff100
	v_lshl_add_u32 v0, v0, 3, v2
	scratch_store_dword off, v0, off offset:364 ; 4-byte Folded Spill
	scratch_store_dword off, v3, off offset:368 ; 4-byte Folded Spill
	v_add3_u32 v0, v148, v3, v0
	v_add_u32_e32 v0, v0, v0
	scratch_store_dword off, v0, off offset:424 ; 4-byte Folded Spill
	v_add_u32_e32 v0, v32, v8
	scratch_store_dword off, v0, off offset:36 ; 4-byte Folded Spill
	;; [unrolled: 2-line block ×6, first 2 shown]
	v_add_u32_e32 v0, v32, v30
	v_mov_b32_e32 v2, 0
	scratch_store_dword off, v0, off offset:16 ; 4-byte Folded Spill
	v_add_u32_e32 v0, v32, v31
	scratch_store_dword off, v0, off offset:12 ; 4-byte Folded Spill
	scratch_store_dword off, v32, off offset:332 ; 4-byte Folded Spill
	v_add_u32_e32 v0, v32, v9
	v_mov_b32_e32 v3, v2
	v_mov_b32_e32 v4, v2
	;; [unrolled: 1-line block ×11, first 2 shown]
	scratch_store_dword off, v0, off offset:8 ; 4-byte Folded Spill
	scratch_store_dwordx4 off, v[6:9], off offset:152 ; 16-byte Folded Spill
	scratch_store_dwordx4 off, v[6:9], off offset:136 ; 16-byte Folded Spill
	;; [unrolled: 1-line block ×3, first 2 shown]
.LBB2_12:                               ; =>This Inner Loop Header: Depth=1
	v_mov_b32_e32 v13, v75
	scratch_store_dword off, v13, off offset:168 ; 4-byte Folded Spill
	v_add_u32_e32 v142, s91, v1
	v_add_u32_e32 v12, s70, v146
	s_waitcnt lgkmcnt(0)
	; wave barrier
	scratch_load_dword v147, off, off offset:332 ; 4-byte Folded Reload
	scratch_load_dword v146, off, off offset:352 ; 4-byte Folded Reload
	scratch_load_dword v144, off, off offset:348 ; 4-byte Folded Reload
	scratch_load_dword v145, off, off offset:344 ; 4-byte Folded Reload
	scratch_load_dword v198, off, off offset:340 ; 4-byte Folded Reload
	scratch_load_dword v199, off, off offset:336 ; 4-byte Folded Reload
	scratch_load_dword v7, off, off offset:36 ; 4-byte Folded Reload
	scratch_load_dword v6, off, off offset:32 ; 4-byte Folded Reload
	scratch_load_dword v10, off, off offset:4 ; 4-byte Folded Reload
	scratch_load_dword v5, off, off offset:28 ; 4-byte Folded Reload
	scratch_load_dword v3, off, off offset:24 ; 4-byte Folded Reload
	scratch_load_dword v2, off, off offset:20 ; 4-byte Folded Reload
	scratch_load_dword v1, off, off offset:16 ; 4-byte Folded Reload
	scratch_load_dword v4, off, off offset:12 ; 4-byte Folded Reload
	scratch_load_dword v8, off, off offset:8 ; 4-byte Folded Reload
	scratch_load_dword v9, off, off         ; 4-byte Folded Reload
	s_waitcnt vmcnt(15)
	ds_read_b128 v[200:203], v147
	s_waitcnt vmcnt(14)
	ds_read_b128 v[204:207], v146
	;; [unrolled: 2-line block ×6, first 2 shown]
	s_waitcnt vmcnt(9)
	ds_read_b128 v[232:235], v7 offset:8192
	s_waitcnt vmcnt(8)
	ds_read_b128 v[236:239], v6 offset:8192
	s_waitcnt vmcnt(7)
	ds_read_b128 v[224:227], v10
	s_waitcnt vmcnt(6)
	ds_read_b128 v[240:243], v5 offset:8192
	s_waitcnt vmcnt(5)
	ds_read_b128 v[244:247], v3 offset:8192
	;; [unrolled: 2-line block ×5, first 2 shown]
	s_waitcnt vmcnt(0)
	ds_read_b128 v[228:231], v9
	ds_read_b128 v[152:155], v8 offset:8192
	ds_read_b128 v[156:159], v147 offset:16384
	ds_read_b128 v[160:163], v146 offset:16384
	ds_read_b128 v[182:185], v144 offset:16384
	ds_read_b128 v[186:189], v145 offset:16384
	ds_read_b128 v[190:193], v198 offset:16384
	ds_read_b128 v[194:197], v199 offset:16384
	ds_read_b128 v[166:169], v10 offset:16384
	ds_read_b128 v[170:173], v9 offset:16384
	ds_read_b128 v[174:177], v7 offset:24576
	ds_read_b128 v[178:181], v6 offset:24576
	ds_read_b128 v[58:61], v5 offset:24576
	ds_read_b128 v[66:69], v3 offset:24576
	ds_read_b128 v[74:77], v2 offset:24576
	ds_read_b128 v[30:33], v1 offset:24576
	ds_read_b128 v[0:3], v4 offset:24576
	ds_read_b128 v[4:7], v8 offset:24576
	; sched_barrier mask(0x00000000)
	; wave barrier
	; sched_barrier mask(0x00000000)
	s_waitcnt lgkmcnt(14)
	v_mfma_f32_16x16x32_f16 v[8:11], v[200:203], v[156:159], v[18:21]
	; sched_barrier mask(0x00000000)
	s_setprio 1
	; sched_barrier mask(0x00000000)
	s_nop 1
	scratch_load_dwordx4 v[18:21], off, off offset:136 ; 16-byte Folded Reload
	v_mfma_f32_16x16x32_f16 v[8:11], v[204:207], v[160:163], v[8:11]
	s_waitcnt lgkmcnt(13)
	v_mfma_f32_16x16x32_f16 v[8:11], v[208:211], v[182:185], v[8:11]
	s_waitcnt lgkmcnt(12)
	;; [unrolled: 2-line block ×6, first 2 shown]
	v_mfma_f32_16x16x32_f16 v[8:11], v[228:231], v[170:173], v[8:11]
	s_waitcnt vmcnt(0) lgkmcnt(7)
	v_mfma_f32_16x16x32_f16 v[200:203], v[200:203], v[174:177], v[18:21]
	s_nop 2
	scratch_load_dwordx4 v[18:21], off, off offset:152 ; 16-byte Folded Reload
	s_nop 1
	scratch_store_dwordx4 off, v[8:11], off offset:152 ; 16-byte Folded Spill
	s_waitcnt lgkmcnt(6)
	v_mfma_f32_16x16x32_f16 v[200:203], v[204:207], v[178:181], v[200:203]
	s_waitcnt vmcnt(1)
	v_mfma_f32_16x16x32_f16 v[156:159], v[232:235], v[156:159], v[18:21]
	s_nop 2
	scratch_load_dwordx4 v[18:21], off, off offset:104 ; 16-byte Folded Reload
	v_mfma_f32_16x16x32_f16 v[156:159], v[236:239], v[160:163], v[156:159]
	v_mfma_f32_16x16x32_f16 v[156:159], v[240:243], v[182:185], v[156:159]
	;; [unrolled: 1-line block ×4, first 2 shown]
	s_waitcnt vmcnt(0)
	v_mfma_f32_16x16x32_f16 v[174:177], v[232:235], v[174:177], v[18:21]
	v_mfma_f32_16x16x32_f16 v[160:163], v[236:239], v[178:181], v[174:177]
	s_waitcnt lgkmcnt(5)
	v_mfma_f32_16x16x32_f16 v[174:177], v[208:211], v[58:61], v[200:203]
	v_mfma_f32_16x16x32_f16 v[58:61], v[240:243], v[58:61], v[160:163]
	s_waitcnt lgkmcnt(4)
	;; [unrolled: 3-line block ×4, first 2 shown]
	v_mfma_f32_16x16x32_f16 v[66:69], v[220:223], v[30:33], v[66:69]
	v_mfma_f32_16x16x32_f16 v[74:77], v[252:255], v[194:197], v[156:159]
	v_mfma_f32_16x16x32_f16 v[30:33], v[252:255], v[30:33], v[58:61]
	s_waitcnt lgkmcnt(1)
	v_mfma_f32_16x16x32_f16 v[58:61], v[224:227], v[0:3], v[66:69]
	v_mfma_f32_16x16x32_f16 v[74:77], v[148:151], v[166:169], v[74:77]
	s_waitcnt lgkmcnt(0)
	v_mfma_f32_16x16x32_f16 v[8:11], v[228:231], v[4:7], v[58:61]
	v_mfma_f32_16x16x32_f16 v[0:3], v[148:151], v[0:3], v[30:33]
	s_nop 6
	scratch_store_dwordx4 off, v[8:11], off offset:104 ; 16-byte Folded Spill
	s_nop 1
	v_mfma_f32_16x16x32_f16 v[8:11], v[152:155], v[170:173], v[74:77]
	s_nop 7
	scratch_store_dwordx4 off, v[8:11], off offset:136 ; 16-byte Folded Spill
	; sched_barrier mask(0x00000000)
	s_waitcnt lgkmcnt(0)
	; wave barrier
	; sched_barrier mask(0x00000000)
	v_mfma_f32_16x16x32_f16 v[0:3], v[152:155], v[4:7], v[0:3]
	s_nop 7
	scratch_store_dwordx4 off, v[0:3], off offset:232 ; 16-byte Folded Spill
	; sched_barrier mask(0x00000000)
	s_setprio 0
	; sched_barrier mask(0x00000000)
	s_nop 0
	v_cndmask_b32_e64 v3, 0, v141, s[4:5]
	v_cndmask_b32_e64 v2, 0, v140, s[4:5]
	;; [unrolled: 1-line block ×7, first 2 shown]
	v_lshlrev_b32_e32 v14, 1, v13
	ds_write_b128 v14, v[0:3]
	scratch_load_dword v0, off, off offset:356 ; 4-byte Folded Reload
	scratch_load_dword v30, off, off offset:372 ; 4-byte Folded Reload
	;; [unrolled: 1-line block ×3, first 2 shown]
	v_cndmask_b32_e64 v11, 0, v117, s[0:1]
	v_cndmask_b32_e64 v10, 0, v116, s[0:1]
	v_cndmask_b32_e64 v117, 0, v121, s[6:7]
	v_cndmask_b32_e64 v116, 0, v120, s[6:7]
	v_cndmask_b32_e64 v121, 0, v17, s[8:9]
	v_cndmask_b32_e64 v120, 0, v16, s[8:9]
	scratch_load_dwordx4 v[16:19], off, off offset:120 ; 16-byte Folded Reload
	v_cndmask_b32_e32 v7, 0, v129, vcc
	v_cndmask_b32_e32 v6, 0, v128, vcc
	;; [unrolled: 1-line block ×4, first 2 shown]
	v_cndmask_b32_e64 v9, 0, v115, s[0:1]
	scratch_load_dword v60, off, off offset:412 ; 4-byte Folded Reload
	scratch_load_dword v61, off, off offset:416 ; 4-byte Folded Reload
	;; [unrolled: 1-line block ×3, first 2 shown]
	v_cndmask_b32_e64 v105, 0, v105, s[2:3]
	v_cndmask_b32_e64 v104, 0, v104, s[2:3]
	v_cndmask_b32_e64 v103, 0, v103, s[2:3]
	v_cndmask_b32_e64 v102, 0, v102, s[2:3]
	v_cndmask_b32_e64 v115, 0, v119, s[6:7]
	v_cndmask_b32_e64 v119, 0, v15, s[8:9]
	v_cndmask_b32_e64 v129, 0, v137, s[10:11]
	v_cndmask_b32_e64 v128, 0, v136, s[10:11]
	v_cndmask_b32_e64 v127, 0, v135, s[10:11]
	v_cndmask_b32_e64 v126, 0, v134, s[10:11]
	v_cndmask_b32_e64 v133, 0, v133, s[12:13]
	v_cndmask_b32_e64 v132, 0, v132, s[12:13]
	v_cndmask_b32_e64 v131, 0, v131, s[12:13]
	v_cndmask_b32_e64 v130, 0, v130, s[12:13]
	v_cndmask_b32_e64 v125, 0, v125, s[14:15]
	v_cndmask_b32_e64 v124, 0, v124, s[14:15]
	v_cndmask_b32_e64 v123, 0, v123, s[14:15]
	v_cndmask_b32_e64 v122, 0, v122, s[14:15]
	v_cndmask_b32_e64 v113, 0, v113, s[16:17]
	v_cndmask_b32_e64 v112, 0, v112, s[16:17]
	v_cndmask_b32_e64 v111, 0, v111, s[16:17]
	v_cndmask_b32_e64 v110, 0, v110, s[16:17]
	v_cndmask_b32_e64 v109, 0, v109, s[18:19]
	v_cndmask_b32_e64 v108, 0, v108, s[18:19]
	v_cndmask_b32_e64 v107, 0, v107, s[18:19]
	v_cndmask_b32_e64 v106, 0, v106, s[18:19]
	v_cndmask_b32_e64 v101, 0, v101, s[20:21]
	v_cndmask_b32_e64 v100, 0, v100, s[20:21]
	v_cndmask_b32_e64 v99, 0, v99, s[20:21]
	v_cndmask_b32_e64 v98, 0, v98, s[20:21]
	v_cndmask_b32_e64 v97, 0, v97, s[22:23]
	v_cndmask_b32_e64 v96, 0, v96, s[22:23]
	v_cndmask_b32_e64 v95, 0, v95, s[22:23]
	v_cndmask_b32_e64 v94, 0, v94, s[22:23]
	v_cndmask_b32_e64 v93, 0, v93, s[24:25]
	v_cndmask_b32_e64 v92, 0, v92, s[24:25]
	v_cndmask_b32_e64 v91, 0, v91, s[24:25]
	v_cndmask_b32_e64 v90, 0, v90, s[24:25]
	v_cndmask_b32_e64 v89, 0, v89, s[26:27]
	v_cndmask_b32_e64 v88, 0, v88, s[26:27]
	v_cndmask_b32_e64 v87, 0, v87, s[26:27]
	v_cndmask_b32_e64 v86, 0, v86, s[26:27]
	v_cndmask_b32_e64 v85, 0, v85, s[28:29]
	v_cndmask_b32_e64 v84, 0, v84, s[28:29]
	v_cndmask_b32_e64 v83, 0, v83, s[28:29]
	v_cndmask_b32_e64 v82, 0, v82, s[28:29]
	v_cndmask_b32_e64 v3, 0, v25, s[38:39]
	v_cndmask_b32_e64 v2, 0, v24, s[38:39]
	v_cndmask_b32_e64 v155, 0, v81, s[42:43]
	v_cndmask_b32_e64 v154, 0, v80, s[42:43]
	v_cndmask_b32_e64 v153, 0, v79, s[42:43]
	v_cndmask_b32_e64 v152, 0, v78, s[42:43]
	v_cndmask_b32_e64 v173, 0, v53, s[50:51]
	v_cndmask_b32_e64 v172, 0, v52, s[50:51]
	v_cndmask_b32_e64 v171, 0, v51, s[50:51]
	v_cndmask_b32_e64 v170, 0, v50, s[50:51]
	v_cndmask_b32_e64 v159, 0, v73, s[44:45]
	scratch_load_dword v32, off, off offset:396 ; 4-byte Folded Reload
	scratch_load_dword v33, off, off offset:400 ; 4-byte Folded Reload
	scratch_load_dword v58, off, off offset:404 ; 4-byte Folded Reload
	scratch_load_dword v59, off, off offset:408 ; 4-byte Folded Reload
	v_cndmask_b32_e64 v158, 0, v72, s[44:45]
	s_waitcnt vmcnt(10)
	v_lshlrev_b32_e32 v0, 1, v0
	scratch_store_dword off, v0, off offset:172 ; 4-byte Folded Spill
	v_add_u32_e32 v1, v14, v0
	s_waitcnt vmcnt(10)
	v_lshlrev_b32_e32 v0, 1, v30
	scratch_store_dword off, v0, off offset:176 ; 4-byte Folded Spill
	v_add3_u32 v0, v1, s92, v0
	ds_write_b128 v1, v[4:7] offset:512
	ds_write_b128 v0, v[8:11] offset:512
	scratch_load_dword v8, off, off offset:376 ; 4-byte Folded Reload
	scratch_load_dword v9, off, off offset:380 ; 4-byte Folded Reload
	;; [unrolled: 1-line block ×4, first 2 shown]
	v_mov_b32_e32 v13, v1
	scratch_load_dwordx4 v[4:7], off, off offset:88 ; 16-byte Folded Reload
	s_waitcnt vmcnt(14)
	v_cndmask_b32_e64 v193, 0, v19, s[60:61]
	scratch_store_dword off, v13, off offset:276 ; 4-byte Folded Spill
	v_cndmask_b32_e64 v192, 0, v18, s[60:61]
	v_cndmask_b32_e64 v191, 0, v17, s[60:61]
	;; [unrolled: 1-line block ×33, first 2 shown]
	scratch_load_dwordx4 v[16:19], off, off offset:72 ; 16-byte Folded Reload
	s_waitcnt vmcnt(6)
	v_lshlrev_b32_e32 v1, 1, v8
	scratch_store_dword off, v1, off offset:180 ; 4-byte Folded Spill
	v_add3_u32 v0, v0, s92, v1
	s_waitcnt vmcnt(6)
	v_lshlrev_b32_e32 v1, 1, v9
	ds_write_b128 v0, v[102:105] offset:512
	scratch_store_dword off, v1, off offset:184 ; 4-byte Folded Spill
	v_add3_u32 v0, v0, s92, v1
	s_waitcnt vmcnt(6)
	v_lshlrev_b32_e32 v1, 1, v10
	ds_write_b128 v0, v[114:117] offset:512
	;; [unrolled: 5-line block ×3, first 2 shown]
	scratch_store_dword off, v1, off offset:192 ; 4-byte Folded Spill
	v_add3_u32 v0, v0, s92, v1
	v_lshlrev_b32_e32 v1, 1, v31
	ds_write_b128 v0, v[126:129] offset:512
	scratch_store_dword off, v1, off offset:196 ; 4-byte Folded Spill
	v_add3_u32 v0, v0, s92, v1
	v_lshlrev_b32_e32 v1, 1, v32
	ds_write_b128 v0, v[130:133] offset:512
	;; [unrolled: 4-line block ×8, first 2 shown]
	scratch_store_dword off, v1, off offset:212 ; 4-byte Folded Spill
	v_add3_u32 v0, v0, s92, v1
	scratch_load_dword v1, off, off offset:360 ; 4-byte Folded Reload
	ds_write_b128 v0, v[86:89] offset:512
	s_waitcnt vmcnt(13)
	v_cndmask_b32_e64 v228, 0, v16, s[62:63]
	v_cndmask_b32_e64 v229, 0, v17, s[62:63]
	;; [unrolled: 1-line block ×4, first 2 shown]
	s_waitcnt vmcnt(0)
	v_lshlrev_b32_e32 v1, 1, v1
	v_add3_u32 v0, v0, s92, v1
	scratch_store_dword off, v1, off offset:216 ; 4-byte Folded Spill
	scratch_store_dword off, v0, off offset:248 ; 4-byte Folded Spill
	ds_write_b128 v0, v[82:85] offset:512
	v_cndmask_b32_e64 v1, 0, v23, s[38:39]
	v_cndmask_b32_e64 v0, 0, v22, s[38:39]
	scratch_load_dwordx4 v[22:25], off, off offset:56 ; 16-byte Folded Reload
	v_cndmask_b32_e64 v7, 0, v7, s[30:31]
	v_cndmask_b32_e64 v6, 0, v6, s[30:31]
	;; [unrolled: 1-line block ×4, first 2 shown]
	ds_write_b128 v14, v[0:3] offset:16384
	ds_write_b128 v13, v[4:7] offset:16896
	v_lshlrev_b32_e32 v0, 1, v12
	v_add_u32_e32 v1, s67, v12
	v_lshlrev_b32_e32 v2, 1, v1
	s_waitcnt vmcnt(0)
	v_cndmask_b32_e64 v129, 0, v25, s[34:35]
	v_cndmask_b32_e64 v128, 0, v24, s[34:35]
	;; [unrolled: 1-line block ×4, first 2 shown]
	scratch_load_dwordx4 v[22:25], off, off offset:40 ; 16-byte Folded Reload
	buffer_load_dwordx4 v[232:235], v0, s[72:75], 0 offen
	buffer_load_dwordx4 v[236:239], v2, s[72:75], 0 offen
	v_add_u32_e32 v0, s67, v1
	v_lshlrev_b32_e32 v1, 1, v0
	v_add_u32_e32 v0, s67, v0
	v_lshlrev_b32_e32 v2, 1, v0
	v_add_u32_e32 v0, s67, v0
	buffer_load_dwordx4 v[240:243], v1, s[72:75], 0 offen
	buffer_load_dwordx4 v[138:141], v2, s[72:75], 0 offen
	v_lshlrev_b32_e32 v1, 1, v0
	v_add_u32_e32 v0, s67, v0
	v_lshlrev_b32_e32 v2, 1, v0
	v_add_u32_e32 v0, s67, v0
	buffer_load_dwordx4 v[130:133], v1, s[72:75], 0 offen
	buffer_load_dwordx4 v[122:125], v2, s[72:75], 0 offen
	;; [unrolled: 6-line block ×6, first 2 shown]
	v_lshlrev_b32_e32 v1, 1, v0
	v_add_u32_e32 v0, s67, v0
	v_lshlrev_b32_e32 v2, 1, v0
	buffer_load_dwordx4 v[86:89], v1, s[72:75], 0 offen
	buffer_load_dwordx4 v[82:85], v2, s[72:75], 0 offen
	v_lshlrev_b32_e32 v1, 1, v142
	v_add_u32_e32 v2, s68, v142
	v_lshlrev_b32_e32 v3, 1, v2
	buffer_load_dwordx4 v[78:81], v1, s[76:79], 0 offen
	buffer_load_dwordx4 v[50:53], v3, s[76:79], 0 offen
	v_add_u32_e32 v1, s68, v2
	v_lshlrev_b32_e32 v2, 1, v1
	v_add_u32_e32 v1, s68, v1
	v_lshlrev_b32_e32 v3, 1, v1
	v_add_u32_e32 v1, s68, v1
	buffer_load_dwordx4 v[70:73], v2, s[76:79], 0 offen
	buffer_load_dwordx4 v[42:45], v3, s[76:79], 0 offen
	v_lshlrev_b32_e32 v2, 1, v1
	v_add_u32_e32 v1, s68, v1
	v_lshlrev_b32_e32 v3, 1, v1
	v_add_u32_e32 v1, s68, v1
	buffer_load_dwordx4 v[62:65], v2, s[76:79], 0 offen
	buffer_load_dwordx4 v[34:37], v3, s[76:79], 0 offen
	v_lshlrev_b32_e32 v2, 1, v1
	v_add_u32_e32 v1, s68, v1
	v_lshlrev_b32_e32 v3, 1, v1
	v_add_u32_e32 v1, s68, v1
	v_add_u32_e32 v0, s70, v0
	s_waitcnt vmcnt(22)
	v_cndmask_b32_e64 v137, 0, v25, s[36:37]
	v_cndmask_b32_e64 v136, 0, v24, s[36:37]
	;; [unrolled: 1-line block ×4, first 2 shown]
	buffer_load_dwordx4 v[54:57], v2, s[76:79], 0 offen
	buffer_load_dwordx4 v[22:25], v3, s[76:79], 0 offen
	v_lshlrev_b32_e32 v2, 1, v1
	v_add_u32_e32 v1, s68, v1
	v_lshlrev_b32_e32 v3, 1, v1
	buffer_load_dwordx4 v[46:49], v2, s[76:79], 0 offen
	s_nop 0
	buffer_load_dwordx4 v[2:5], v3, s[76:79], 0 offen
	v_add_u32_e32 v1, s68, v1
	s_waitcnt vmcnt(0)
	scratch_store_dwordx4 off, v[2:5], off offset:280 ; 16-byte Folded Spill
	s_nop 1
	v_lshlrev_b32_e32 v2, 1, v1
	v_add_u32_e32 v1, s68, v1
	v_lshlrev_b32_e32 v3, 1, v1
	buffer_load_dwordx4 v[38:41], v2, s[76:79], 0 offen
	s_nop 0
	buffer_load_dwordx4 v[2:5], v3, s[76:79], 0 offen
	v_add_u32_e32 v1, s68, v1
	s_waitcnt vmcnt(0)
	scratch_store_dwordx4 off, v[2:5], off offset:120 ; 16-byte Folded Spill
	s_nop 1
	v_lshlrev_b32_e32 v2, 1, v1
	v_add_u32_e32 v1, s68, v1
	v_lshlrev_b32_e32 v3, 1, v1
	buffer_load_dwordx4 v[26:29], v2, s[76:79], 0 offen
	s_nop 0
	buffer_load_dwordx4 v[2:5], v3, s[76:79], 0 offen
	v_add_u32_e32 v1, s68, v1
	scratch_store_dword off, v0, off offset:56 ; 4-byte Folded Spill
	s_waitcnt vmcnt(1)
	scratch_store_dwordx4 off, v[2:5], off offset:88 ; 16-byte Folded Spill
	s_nop 1
	v_lshlrev_b32_e32 v2, 1, v1
	buffer_load_dwordx4 v[4:7], v2, s[76:79], 0 offen
	v_add_u32_e32 v1, s68, v1
	v_lshlrev_b32_e32 v3, 1, v1
	v_add_u32_e32 v0, s91, v1
	scratch_store_dword off, v0, off offset:40 ; 4-byte Folded Spill
	s_waitcnt vmcnt(1)
	scratch_store_dwordx4 off, v[4:7], off offset:296 ; 16-byte Folded Spill
	buffer_load_dwordx4 v[2:5], v3, s[76:79], 0 offen
	s_waitcnt vmcnt(0)
	scratch_store_dwordx4 off, v[2:5], off offset:72 ; 16-byte Folded Spill
	s_nop 1
	v_add_u32_e32 v2, 0x100, v30
	v_lshl_add_u32 v164, v2, 1, v13
	v_add_u32_e32 v2, 0x100, v8
	v_lshl_add_u32 v15, v2, 1, v164
	v_add_u32_e32 v2, 0x100, v9
	v_lshl_add_u32 v14, v2, 1, v15
	v_add_u32_e32 v2, 0x100, v10
	v_lshl_add_u32 v3, v2, 1, v14
	v_add_u32_e32 v2, 0x100, v11
	v_lshl_add_u32 v143, v2, 1, v3
	v_add_u32_e32 v2, 0x100, v31
	v_lshl_add_u32 v165, v2, 1, v143
	v_add_u32_e32 v2, 0x100, v32
	v_lshl_add_u32 v13, v2, 1, v165
	v_add_u32_e32 v2, 0x100, v33
	v_lshl_add_u32 v226, v2, 1, v13
	v_add_u32_e32 v2, 0x100, v58
	v_lshl_add_u32 v16, v2, 1, v226
	v_add_u32_e32 v2, 0x100, v59
	v_lshl_add_u32 v17, v2, 1, v16
	v_add_u32_e32 v2, 0x100, v60
	v_lshl_add_u32 v12, v2, 1, v17
	v_add_u32_e32 v2, 0x100, v61
	v_lshl_add_u32 v227, v2, 1, v12
	v_add_u32_e32 v2, 0x100, v66
	v_lshl_add_u32 v142, v2, 1, v227
	scratch_load_dword v2, off, off offset:368 ; 4-byte Folded Reload
	ds_write_b128 v164, v[126:129] offset:16896
	ds_write_b128 v15, v[134:137] offset:16896
	;; [unrolled: 1-line block ×3, first 2 shown]
	scratch_store_dword off, v3, off offset:312 ; 4-byte Folded Spill
	ds_write_b128 v3, v[152:155] offset:16896
	ds_write_b128 v143, v[156:159] offset:16896
	;; [unrolled: 1-line block ×10, first 2 shown]
	s_waitcnt vmcnt(1)
	v_lshl_add_u32 v2, v2, 1, v142
	scratch_store_dword off, v2, off offset:316 ; 4-byte Folded Spill
	ds_write_b128 v2, v[228:231] offset:16896
	s_waitcnt lgkmcnt(0)
	; wave barrier
	ds_read_b128 v[134:137], v147
	ds_read_b128 v[148:151], v147 offset:16384
	ds_read_b128 v[152:155], v146
	ds_read_b128 v[156:159], v146 offset:16384
	;; [unrolled: 2-line block ×6, first 2 shown]
	scratch_load_dword v0, off, off offset:4 ; 4-byte Folded Reload
	s_waitcnt vmcnt(0)
	ds_read_b128 v[228:231], v0
	ds_read_b128 v[244:247], v0 offset:16384
	scratch_load_dword v0, off, off         ; 4-byte Folded Reload
	s_waitcnt vmcnt(0)
	ds_read_b128 v[248:251], v0
	ds_read_b128 v[252:255], v0 offset:16384
	scratch_load_dword v0, off, off offset:36 ; 4-byte Folded Reload
	s_waitcnt vmcnt(0)
	ds_read_b128 v[144:147], v0 offset:8192
	ds_read_b128 v[198:201], v0 offset:24576
	scratch_load_dword v0, off, off offset:32 ; 4-byte Folded Reload
	s_waitcnt vmcnt(0)
	ds_read_b128 v[202:205], v0 offset:8192
	;; [unrolled: 4-line block ×8, first 2 shown]
	ds_read_b128 v[4:7], v0 offset:24576
	; sched_barrier mask(0x00000000)
	; wave barrier
	; sched_barrier mask(0x00000000)
	scratch_load_dwordx4 v[0:3], off, off offset:152 ; 16-byte Folded Reload
	s_waitcnt vmcnt(0) lgkmcnt(14)
	v_mfma_f32_16x16x32_f16 v[0:3], v[134:137], v[148:151], v[0:3]
	; sched_barrier mask(0x00000000)
	s_setprio 1
	; sched_barrier mask(0x00000000)
	scratch_load_dwordx4 v[18:21], off, off offset:104 ; 16-byte Folded Reload
	v_mfma_f32_16x16x32_f16 v[0:3], v[152:155], v[156:159], v[0:3]
	v_mfma_f32_16x16x32_f16 v[0:3], v[160:163], v[166:169], v[0:3]
	;; [unrolled: 1-line block ×6, first 2 shown]
	s_waitcnt vmcnt(0)
	v_mfma_f32_16x16x32_f16 v[134:137], v[134:137], v[198:201], v[18:21]
	s_nop 2
	scratch_load_dwordx4 v[18:21], off, off offset:136 ; 16-byte Folded Reload
	s_waitcnt lgkmcnt(12)
	v_mfma_f32_16x16x32_f16 v[134:137], v[152:155], v[206:209], v[134:137]
	s_waitcnt lgkmcnt(10)
	v_mfma_f32_16x16x32_f16 v[134:137], v[160:163], v[214:217], v[134:137]
	;; [unrolled: 2-line block ×4, first 2 shown]
	v_mov_b32_e32 v181, v13
	s_waitcnt vmcnt(0)
	v_mfma_f32_16x16x32_f16 v[148:151], v[144:147], v[148:151], v[18:21]
	s_nop 2
	scratch_load_dwordx4 v[18:21], off, off offset:232 ; 16-byte Folded Reload
	v_mfma_f32_16x16x32_f16 v[148:151], v[202:205], v[156:159], v[148:151]
	v_mfma_f32_16x16x32_f16 v[148:151], v[210:213], v[166:169], v[148:151]
	v_mov_b32_e32 v169, v12
	v_mov_b32_e32 v168, v17
	;; [unrolled: 1-line block ×3, first 2 shown]
	v_mfma_f32_16x16x32_f16 v[148:151], v[218:221], v[174:177], v[148:151]
	v_mov_b32_e32 v176, v14
	v_mov_b32_e32 v175, v15
	s_waitcnt vmcnt(0)
	v_mfma_f32_16x16x32_f16 v[144:147], v[144:147], v[198:201], v[18:21]
	v_mfma_f32_16x16x32_f16 v[144:147], v[202:205], v[206:209], v[144:147]
	;; [unrolled: 1-line block ×5, first 2 shown]
	scratch_load_dword v185, off, off offset:264 ; 4-byte Folded Reload
	scratch_load_dword v166, off, off offset:272 ; 4-byte Folded Reload
	;; [unrolled: 1-line block ×3, first 2 shown]
	v_mfma_f32_16x16x32_f16 v[30:33], v[58:61], v[66:69], v[30:33]
	s_waitcnt lgkmcnt(4)
	v_mfma_f32_16x16x32_f16 v[58:61], v[186:189], v[222:225], v[134:137]
	v_mfma_f32_16x16x32_f16 v[66:69], v[74:77], v[190:193], v[144:147]
	;; [unrolled: 1-line block ×3, first 2 shown]
	s_waitcnt lgkmcnt(2)
	v_mfma_f32_16x16x32_f16 v[58:61], v[228:231], v[126:129], v[58:61]
	v_mfma_f32_16x16x32_f16 v[66:69], v[194:197], v[244:247], v[66:69]
	;; [unrolled: 1-line block ×4, first 2 shown]
	s_waitcnt lgkmcnt(0)
	v_mfma_f32_16x16x32_f16 v[0:3], v[248:251], v[4:7], v[58:61]
	s_nop 7
	scratch_store_dwordx4 off, v[0:3], off offset:136 ; 16-byte Folded Spill
	s_nop 1
	v_mfma_f32_16x16x32_f16 v[0:3], v[8:11], v[252:255], v[66:69]
	s_nop 7
	scratch_store_dwordx4 off, v[0:3], off offset:152 ; 16-byte Folded Spill
	; sched_barrier mask(0x00000000)
	s_waitcnt lgkmcnt(0)
	; wave barrier
	; sched_barrier mask(0x00000000)
	s_nop 0
	v_mfma_f32_16x16x32_f16 v[0:3], v[8:11], v[4:7], v[30:33]
	s_nop 7
	scratch_store_dwordx4 off, v[0:3], off offset:104 ; 16-byte Folded Spill
	; sched_barrier mask(0x00000000)
	s_setprio 0
	; sched_barrier mask(0x00000000)
	scratch_load_dword v12, off, off offset:364 ; 4-byte Folded Reload
	v_cndmask_b32_e64 v74, 0, v118, s[10:11]
	v_cndmask_b32_e64 v3, 0, v235, s[4:5]
	;; [unrolled: 1-line block ×6, first 2 shown]
	v_cndmask_b32_e32 v7, 0, v239, vcc
	v_cndmask_b32_e32 v6, 0, v238, vcc
	;; [unrolled: 1-line block ×4, first 2 shown]
	v_cndmask_b32_e64 v11, 0, v243, s[0:1]
	v_cndmask_b32_e64 v10, 0, v242, s[0:1]
	;; [unrolled: 1-line block ×69, first 2 shown]
	s_waitcnt vmcnt(0)
	v_lshlrev_b32_e32 v118, 1, v12
	scratch_load_dword v12, off, off offset:168 ; 4-byte Folded Reload
	scratch_load_dword v13, off, off offset:248 ; 4-byte Folded Reload
	v_cndmask_b32_e64 v38, 0, v38, s[52:53]
	v_cndmask_b32_e64 v29, 0, v29, s[56:57]
	v_cndmask_b32_e64 v28, 0, v28, s[56:57]
	v_cndmask_b32_e64 v27, 0, v27, s[56:57]
	v_cndmask_b32_e64 v26, 0, v26, s[56:57]
	s_add_i32 s88, s88, 2
	s_cmp_lt_i32 s88, s80
	scratch_load_dwordx4 v[14:17], off, off offset:280 ; 16-byte Folded Reload
	scratch_load_dword v178, off, off offset:312 ; 4-byte Folded Reload
	s_waitcnt vmcnt(2)
	v_add3_u32 v119, v13, s92, v118
	ds_write_b128 v119, v[0:3]
	scratch_load_dword v0, off, off offset:172 ; 4-byte Folded Reload
	scratch_load_dword v1, off, off offset:176 ; 4-byte Folded Reload
	scratch_load_dwordx4 v[18:21], off, off offset:120 ; 16-byte Folded Reload
	v_cndmask_b32_e64 v3, 0, v81, s[38:39]
	v_cndmask_b32_e64 v2, 0, v80, s[38:39]
	s_waitcnt vmcnt(4)
	v_cndmask_b32_e64 v17, 0, v17, s[50:51]
	v_cndmask_b32_e64 v16, 0, v16, s[50:51]
	;; [unrolled: 1-line block ×4, first 2 shown]
	s_waitcnt vmcnt(2)
	v_mov_b32_e32 v145, v0
	v_add_u32_e32 v0, v119, v0
	ds_write_b128 v0, v[4:7] offset:512
	s_waitcnt vmcnt(1)
	v_mov_b32_e32 v179, v1
	v_add3_u32 v0, v0, s92, v1
	scratch_load_dword v1, off, off offset:180 ; 4-byte Folded Reload
	ds_write_b128 v0, v[8:11] offset:512
	v_cndmask_b32_e64 v7, 0, v53, s[30:31]
	v_cndmask_b32_e64 v6, 0, v52, s[30:31]
	;; [unrolled: 1-line block ×8, first 2 shown]
	s_waitcnt vmcnt(1)
	v_cndmask_b32_e64 v57, 0, v21, s[54:55]
	v_cndmask_b32_e64 v56, 0, v20, s[54:55]
	;; [unrolled: 1-line block ×4, first 2 shown]
	scratch_load_dwordx4 v[18:21], off, off offset:88 ; 16-byte Folded Reload
	v_cndmask_b32_e64 v11, 0, v73, s[34:35]
	v_cndmask_b32_e64 v10, 0, v72, s[34:35]
	;; [unrolled: 1-line block ×4, first 2 shown]
	s_waitcnt vmcnt(1)
	v_mov_b32_e32 v177, v1
	v_add3_u32 v0, v0, s92, v1
	scratch_load_dword v1, off, off offset:184 ; 4-byte Folded Reload
	ds_write_b128 v0, v[30:33] offset:512
	v_cndmask_b32_e64 v33, 0, v45, s[36:37]
	v_cndmask_b32_e64 v32, 0, v44, s[36:37]
	;; [unrolled: 1-line block ×8, first 2 shown]
	scratch_load_dwordx4 v[62:65], off, off offset:72 ; 16-byte Folded Reload
	s_waitcnt vmcnt(1)
	v_mov_b32_e32 v162, v1
	v_add3_u32 v0, v0, s92, v1
	scratch_load_dword v1, off, off offset:188 ; 4-byte Folded Reload
	ds_write_b128 v0, v[58:61] offset:512
	v_cndmask_b32_e64 v61, 0, v21, s[58:59]
	v_cndmask_b32_e64 v60, 0, v20, s[58:59]
	;; [unrolled: 1-line block ×4, first 2 shown]
	scratch_load_dwordx4 v[18:21], off, off offset:296 ; 16-byte Folded Reload
	s_waitcnt vmcnt(2)
	v_cndmask_b32_e64 v65, 0, v65, s[62:63]
	v_cndmask_b32_e64 v64, 0, v64, s[62:63]
	;; [unrolled: 1-line block ×4, first 2 shown]
	s_waitcnt vmcnt(1)
	v_mov_b32_e32 v255, v1
	v_add3_u32 v0, v0, s92, v1
	scratch_load_dword v1, off, off offset:192 ; 4-byte Folded Reload
	ds_write_b128 v0, v[66:69] offset:512
	scratch_load_dword v66, off, off offset:316 ; 4-byte Folded Reload
	s_waitcnt vmcnt(2)
	v_cndmask_b32_e64 v21, 0, v21, s[60:61]
	v_cndmask_b32_e64 v20, 0, v20, s[60:61]
	;; [unrolled: 1-line block ×4, first 2 shown]
	s_waitcnt vmcnt(1)
	v_mov_b32_e32 v254, v1
	v_add3_u32 v0, v0, s92, v1
	scratch_load_dword v1, off, off offset:196 ; 4-byte Folded Reload
	ds_write_b128 v0, v[74:77] offset:512
	s_waitcnt vmcnt(1)
	v_add_u32_e32 v228, v66, v118
	s_waitcnt vmcnt(0)
	v_mov_b32_e32 v13, v1
	v_add3_u32 v0, v0, s92, v1
	scratch_load_dword v1, off, off offset:200 ; 4-byte Folded Reload
	ds_write_b128 v0, v[114:117] offset:512
	s_waitcnt vmcnt(0)
	v_mov_b32_e32 v163, v1
	v_add3_u32 v0, v0, s92, v1
	scratch_load_dword v1, off, off offset:204 ; 4-byte Folded Reload
	ds_write_b128 v0, v[110:113] offset:512
	;; [unrolled: 5-line block ×4, first 2 shown]
	v_add3_u32 v0, v0, s92, v185
	ds_write_b128 v0, v[98:101] offset:512
	v_add3_u32 v0, v0, s92, v180
	ds_write_b128 v0, v[94:97] offset:512
	;; [unrolled: 2-line block ×3, first 2 shown]
	s_waitcnt vmcnt(0)
	v_mov_b32_e32 v184, v1
	v_add3_u32 v0, v0, s92, v1
	scratch_load_dword v1, off, off offset:216 ; 4-byte Folded Reload
	ds_write_b128 v0, v[86:89] offset:512
	s_waitcnt vmcnt(0)
	v_add3_u32 v229, v0, s92, v1
	scratch_load_dword v0, off, off offset:424 ; 4-byte Folded Reload
	v_cndmask_b32_e64 v1, 0, v79, s[38:39]
	ds_write_b128 v229, v[82:85] offset:512
	s_waitcnt vmcnt(0)
	v_add_u32_e32 v75, v12, v0
	v_cndmask_b32_e64 v0, 0, v78, s[38:39]
	ds_write_b128 v228, v[0:3] offset:16896
	scratch_load_dword v0, off, off offset:276 ; 4-byte Folded Reload
	s_waitcnt vmcnt(0)
	ds_write_b128 v0, v[4:7] offset:16896
	ds_write_b128 v164, v[8:11] offset:16896
	;; [unrolled: 1-line block ×14, first 2 shown]
	scratch_load_dword v1, off, off offset:56 ; 4-byte Folded Reload
	scratch_load_dword v2, off, off offset:40 ; 4-byte Folded Reload
	v_mov_b32_e32 v144, v0
	v_mov_b64_e32 v[18:19], v[126:127]
	v_mov_b64_e32 v[20:21], v[128:129]
	ds_write_b128 v66, v[62:65] offset:16896
	s_waitcnt vmcnt(1)
	v_lshlrev_b32_e32 v0, 1, v1
	buffer_load_dwordx4 v[138:141], v0, s[72:75], 0 offen
	v_add_u32_e32 v0, s67, v1
	v_lshlrev_b32_e32 v1, 1, v0
	v_add_u32_e32 v0, s67, v0
	buffer_load_dwordx4 v[126:129], v1, s[72:75], 0 offen
	v_lshlrev_b32_e32 v1, 1, v0
	v_add_u32_e32 v0, s67, v0
	buffer_load_dwordx4 v[114:117], v1, s[72:75], 0 offen
	;; [unrolled: 3-line block ×3, first 2 shown]
	v_lshlrev_b32_e32 v1, 1, v0
	buffer_load_dwordx4 v[118:121], v1, s[72:75], 0 offen
	s_waitcnt vmcnt(5)
	v_lshlrev_b32_e32 v1, 1, v2
	buffer_load_dwordx4 v[22:25], v1, s[76:79], 0 offen
	v_add_u32_e32 v1, s68, v2
	v_lshlrev_b32_e32 v2, 1, v1
	buffer_load_dwordx4 v[2:5], v2, s[76:79], 0 offen
	v_add_u32_e32 v1, s68, v1
	v_add_u32_e32 v0, s89, v0
	s_waitcnt vmcnt(0)
	scratch_store_dwordx4 off, v[2:5], off offset:88 ; 16-byte Folded Spill
	s_nop 1
	v_lshlrev_b32_e32 v2, 1, v1
	buffer_load_dwordx4 v[2:5], v2, s[76:79], 0 offen
	v_add_u32_e32 v1, s68, v1
	s_waitcnt vmcnt(0)
	scratch_store_dwordx4 off, v[2:5], off offset:56 ; 16-byte Folded Spill
	s_nop 1
	v_lshlrev_b32_e32 v2, 1, v1
	buffer_load_dwordx4 v[2:5], v2, s[76:79], 0 offen
	;; [unrolled: 6-line block ×3, first 2 shown]
	v_add_u32_e32 v2, s90, v1
	v_lshlrev_b32_e32 v1, 1, v0
	v_add_u32_e32 v0, s89, v0
	buffer_load_dwordx4 v[14:17], v1, s[72:75], 0 offen
	v_lshlrev_b32_e32 v1, 1, v0
	v_add_u32_e32 v0, s89, v0
	buffer_load_dwordx4 v[134:137], v1, s[72:75], 0 offen
	;; [unrolled: 3-line block ×8, first 2 shown]
	v_lshlrev_b32_e32 v1, 1, v0
	v_add_u32_e32 v0, s89, v0
	v_add_u32_e32 v146, s89, v0
	buffer_load_dwordx4 v[90:93], v1, s[72:75], 0 offen
	v_lshlrev_b32_e32 v1, 1, v0
	v_lshlrev_b32_e32 v0, 1, v146
	v_add_u32_e32 v3, s90, v2
	buffer_load_dwordx4 v[86:89], v1, s[72:75], 0 offen
	buffer_load_dwordx4 v[82:85], v0, s[72:75], 0 offen
	v_lshlrev_b32_e32 v0, 1, v2
	v_add_u32_e32 v4, s90, v3
	buffer_load_dwordx4 v[78:81], v0, s[76:79], 0 offen
	v_lshlrev_b32_e32 v0, 1, v3
	v_add_u32_e32 v5, s90, v4
	;; [unrolled: 3-line block ×8, first 2 shown]
	buffer_load_dwordx4 v[34:37], v0, s[76:79], 0 offen
	v_lshlrev_b32_e32 v0, 1, v10
	buffer_load_dwordx4 v[26:29], v0, s[76:79], 0 offen
	v_lshlrev_b32_e32 v0, 1, v11
	buffer_load_dwordx4 v[2:5], v0, s[76:79], 0 offen
	v_add_u32_e32 v1, s90, v11
	v_lshlrev_b32_e32 v0, 1, v1
	s_waitcnt vmcnt(0)
	scratch_store_dwordx4 off, v[2:5], off offset:120 ; 16-byte Folded Spill
	buffer_load_dwordx4 v[2:5], v0, s[76:79], 0 offen
	s_waitcnt vmcnt(0)
	scratch_store_dwordx4 off, v[2:5], off offset:72 ; 16-byte Folded Spill
	s_cbranch_scc1 .LBB2_12
; %bb.13:
	scratch_load_dword v0, off, off offset:356 ; 4-byte Folded Reload
	v_mov_b32_e32 v174, v164
	v_mov_b32_e32 v164, v143
	v_mov_b32_e32 v143, v142
	scratch_load_dword v1, off, off offset:428 ; 4-byte Folded Reload
	scratch_load_dword v142, off, off offset:496 ; 4-byte Folded Reload
	s_lshl_b64 s[72:73], s[86:87], 1
	s_add_u32 s72, s84, s72
	s_mul_i32 s67, s71, s69
	s_mul_hi_u32 s68, 0, s69
	s_addc_u32 s73, s85, s73
	s_add_i32 s67, s68, s67
	s_waitcnt vmcnt(2)
	v_add_u32_e32 v0, v12, v0
	s_waitcnt vmcnt(1)
	v_mov_b32_e32 v31, v1
	s_waitcnt vmcnt(0)
	v_add3_u32 v0, v0, v1, v142
	scratch_load_dword v1, off, off offset:432 ; 4-byte Folded Reload
	scratch_load_dword v2, off, off offset:436 ; 4-byte Folded Reload
	s_waitcnt vmcnt(1)
	v_mov_b32_e32 v11, v1
	s_waitcnt vmcnt(0)
	v_add3_u32 v0, v0, v1, v2
	scratch_load_dword v9, off, off offset:440 ; 4-byte Folded Reload
	scratch_load_dword v1, off, off offset:444 ; 4-byte Folded Reload
	;; [unrolled: 1-line block ×8, first 2 shown]
	v_mov_b32_e32 v30, v2
	s_waitcnt vmcnt(6)
	v_add3_u32 v0, v0, v9, v1
	v_mov_b32_e32 v10, v1
	scratch_load_dword v2, off, off offset:472 ; 4-byte Folded Reload
	scratch_load_dword v1, off, off offset:368 ; 4-byte Folded Reload
	;; [unrolled: 1-line block ×4, first 2 shown]
	s_waitcnt vmcnt(8)
	v_add3_u32 v0, v0, v7, v8
	s_waitcnt vmcnt(6)
	v_add3_u32 v0, v0, v5, v6
	;; [unrolled: 2-line block ×5, first 2 shown]
	v_add3_u32 v0, v0, v31, v142
	v_add3_u32 v0, v0, v11, v30
	;; [unrolled: 1-line block ×7, first 2 shown]
	scratch_store_dword off, v0, off offset:168 ; 4-byte Folded Spill
	s_waitcnt lgkmcnt(0)
	; wave barrier
	scratch_load_dword v0, off, off offset:332 ; 4-byte Folded Reload
	s_waitcnt vmcnt(0)
	ds_read_b128 v[4:7], v0
	ds_read_b128 v[8:11], v0 offset:16384
	scratch_load_dword v0, off, off offset:352 ; 4-byte Folded Reload
	s_waitcnt vmcnt(0)
	ds_read_b128 v[58:61], v0
	ds_read_b128 v[66:69], v0 offset:16384
	;; [unrolled: 4-line block ×6, first 2 shown]
	s_waitcnt lgkmcnt(1)
	scratch_store_dwordx4 off, v[30:33], off offset:296 ; 16-byte Folded Spill
	s_waitcnt lgkmcnt(0)
	scratch_store_dwordx4 off, v[0:3], off offset:316 ; 16-byte Folded Spill
	scratch_load_dword v0, off, off offset:4 ; 4-byte Folded Reload
	s_waitcnt vmcnt(0)
	ds_read_b128 v[30:33], v0
	ds_read_b128 v[0:3], v0 offset:16384
	s_waitcnt lgkmcnt(1)
	scratch_store_dwordx4 off, v[30:33], off offset:248 ; 16-byte Folded Spill
	s_waitcnt lgkmcnt(0)
	scratch_store_dwordx4 off, v[0:3], off offset:280 ; 16-byte Folded Spill
	scratch_load_dword v0, off, off         ; 4-byte Folded Reload
	s_waitcnt vmcnt(0)
	ds_read_b128 v[30:33], v0
	ds_read_b128 v[0:3], v0 offset:16384
	s_waitcnt lgkmcnt(1)
	scratch_store_dwordx4 off, v[30:33], off offset:216 ; 16-byte Folded Spill
	s_waitcnt lgkmcnt(0)
	scratch_store_dwordx4 off, v[0:3], off offset:232 ; 16-byte Folded Spill
	scratch_load_dword v0, off, off offset:36 ; 4-byte Folded Reload
	s_waitcnt vmcnt(0)
	ds_read_b128 v[186:189], v0 offset:8192
	ds_read_b128 v[190:193], v0 offset:24576
	scratch_load_dword v0, off, off offset:32 ; 4-byte Folded Reload
	s_waitcnt vmcnt(0)
	ds_read_b128 v[194:197], v0 offset:8192
	ds_read_b128 v[198:201], v0 offset:24576
	;; [unrolled: 4-line block ×8, first 2 shown]
	; sched_barrier mask(0x00000000)
	; wave barrier
	; sched_barrier mask(0x00000000)
	v_mfma_f32_16x16x32_f16 v[30:33], v[4:7], v[8:11], v[18:21]
	; sched_barrier mask(0x00000000)
	s_setprio 1
	; sched_barrier mask(0x00000000)
	s_nop 1
	scratch_load_dwordx4 v[18:21], off, off offset:152 ; 16-byte Folded Reload
	scratch_load_dwordx4 v[0:3], off, off offset:136 ; 16-byte Folded Reload
	s_waitcnt vmcnt(1) lgkmcnt(14)
	v_mfma_f32_16x16x32_f16 v[8:11], v[186:189], v[8:11], v[18:21]
	s_nop 2
	scratch_load_dwordx4 v[18:21], off, off offset:104 ; 16-byte Folded Reload
	s_waitcnt vmcnt(1)
	v_mfma_f32_16x16x32_f16 v[0:3], v[4:7], v[190:193], v[0:3]
	v_mfma_f32_16x16x32_f16 v[4:7], v[58:61], v[66:69], v[30:33]
	s_waitcnt lgkmcnt(12)
	v_mfma_f32_16x16x32_f16 v[0:3], v[58:61], v[198:201], v[0:3]
	v_mfma_f32_16x16x32_f16 v[8:11], v[194:197], v[66:69], v[8:11]
	v_mfma_f32_16x16x32_f16 v[4:7], v[74:77], v[146:149], v[4:7]
	s_waitcnt lgkmcnt(10)
	v_mfma_f32_16x16x32_f16 v[0:3], v[74:77], v[206:209], v[0:3]
	;; [unrolled: 4-line block ×4, first 2 shown]
	v_mfma_f32_16x16x32_f16 v[8:11], v[218:221], v[170:173], v[8:11]
	s_waitcnt vmcnt(0)
	v_mfma_f32_16x16x32_f16 v[186:189], v[186:189], v[190:193], v[18:21]
	s_nop 2
	scratch_load_dwordx4 v[18:21], off, off offset:316 ; 16-byte Folded Reload
	scratch_load_dwordx4 v[58:61], off, off offset:296 ; 16-byte Folded Reload
	v_mfma_f32_16x16x32_f16 v[30:33], v[194:197], v[198:201], v[186:189]
	v_mfma_f32_16x16x32_f16 v[30:33], v[202:205], v[206:209], v[30:33]
	;; [unrolled: 1-line block ×4, first 2 shown]
	s_waitcnt lgkmcnt(4)
	v_mfma_f32_16x16x32_f16 v[30:33], v[230:233], v[234:237], v[30:33]
	s_waitcnt lgkmcnt(2)
	v_mfma_f32_16x16x32_f16 v[30:33], v[238:241], v[242:245], v[30:33]
	s_waitcnt vmcnt(1)
	v_mfma_f32_16x16x32_f16 v[8:11], v[230:233], v[18:21], v[8:11]
	s_waitcnt vmcnt(0)
	v_mfma_f32_16x16x32_f16 v[4:7], v[58:61], v[18:21], v[4:7]
	v_mfma_f32_16x16x32_f16 v[0:3], v[58:61], v[234:237], v[0:3]
	scratch_load_dwordx4 v[18:21], off, off offset:248 ; 16-byte Folded Reload
	scratch_load_dwordx4 v[58:61], off, off offset:280 ; 16-byte Folded Reload
	s_waitcnt vmcnt(1)
	v_mfma_f32_16x16x32_f16 v[0:3], v[18:21], v[242:245], v[0:3]
	s_waitcnt vmcnt(0)
	v_mfma_f32_16x16x32_f16 v[4:7], v[18:21], v[58:61], v[4:7]
	v_mfma_f32_16x16x32_f16 v[58:61], v[238:241], v[58:61], v[8:11]
	s_nop 2
	scratch_load_dwordx4 v[8:11], off, off offset:216 ; 16-byte Folded Reload
	scratch_load_dwordx4 v[18:21], off, off offset:232 ; 16-byte Folded Reload
	s_waitcnt vmcnt(0)
	v_mfma_f32_16x16x32_f16 v[146:149], v[8:11], v[18:21], v[4:7]
	s_waitcnt lgkmcnt(0)
	v_mfma_f32_16x16x32_f16 v[2:5], v[8:11], v[250:253], v[0:3]
	v_mfma_f32_16x16x32_f16 v[6:9], v[246:249], v[18:21], v[58:61]
	; sched_barrier mask(0x00000000)
	s_waitcnt lgkmcnt(0)
	; wave barrier
	; sched_barrier mask(0x00000000)
	v_mfma_f32_16x16x32_f16 v[30:33], v[246:249], v[250:253], v[30:33]
	; sched_barrier mask(0x00000000)
	s_setprio 0
	; sched_barrier mask(0x00000000)
	v_cndmask_b32_e64 v61, 0, v141, s[4:5]
	v_cndmask_b32_e64 v60, 0, v140, s[4:5]
	;; [unrolled: 1-line block ×4, first 2 shown]
	v_lshl_add_u32 v0, v12, 1, v229
	ds_write_b128 v0, v[58:61] offset:512
	scratch_load_dword v1, off, off offset:168 ; 4-byte Folded Reload
	scratch_load_dword v10, off, off offset:476 ; 4-byte Folded Reload
	v_cndmask_b32_e64 v77, 0, v117, s[0:1]
	v_cndmask_b32_e64 v76, 0, v116, s[0:1]
	;; [unrolled: 1-line block ×4, first 2 shown]
	s_movk_i32 s0, 0x200
	v_cndmask_b32_e32 v69, 0, v129, vcc
	v_cndmask_b32_e32 v68, 0, v128, vcc
	;; [unrolled: 1-line block ×4, first 2 shown]
	v_add3_u32 v0, v0, s0, v145
	ds_write_b128 v0, v[66:69] offset:512
	v_add3_u32 v0, v0, s0, v179
	v_cndmask_b32_e64 v105, 0, v105, s[2:3]
	v_cndmask_b32_e64 v104, 0, v104, s[2:3]
	;; [unrolled: 1-line block ×4, first 2 shown]
	ds_write_b128 v0, v[74:77] offset:512
	v_add3_u32 v0, v0, s0, v177
	v_cndmask_b32_e64 v117, 0, v121, s[6:7]
	v_cndmask_b32_e64 v116, 0, v120, s[6:7]
	;; [unrolled: 1-line block ×4, first 2 shown]
	ds_write_b128 v0, v[102:105] offset:512
	v_add3_u32 v0, v0, s0, v162
	ds_write_b128 v0, v[114:117] offset:512
	v_cndmask_b32_e64 v121, 0, v17, s[8:9]
	v_cndmask_b32_e64 v120, 0, v16, s[8:9]
	;; [unrolled: 1-line block ×4, first 2 shown]
	v_add3_u32 v0, v0, s0, v255
	v_cndmask_b32_e64 v129, 0, v137, s[10:11]
	v_cndmask_b32_e64 v128, 0, v136, s[10:11]
	;; [unrolled: 1-line block ×49, first 2 shown]
	s_waitcnt vmcnt(0)
	v_add3_u32 v1, v1, v12, v10
	scratch_load_dword v10, off, off offset:428 ; 4-byte Folded Reload
	v_cndmask_b32_e64 v76, 0, v80, s[42:43]
	v_cndmask_b32_e64 v75, 0, v79, s[42:43]
	v_cndmask_b32_e64 v74, 0, v78, s[42:43]
	v_cndmask_b32_e64 v73, 0, v73, s[44:45]
	v_cndmask_b32_e64 v72, 0, v72, s[44:45]
	v_cndmask_b32_e64 v71, 0, v71, s[44:45]
	v_cndmask_b32_e64 v70, 0, v70, s[44:45]
	v_cndmask_b32_e64 v65, 0, v65, s[46:47]
	v_cndmask_b32_e64 v64, 0, v64, s[46:47]
	v_cndmask_b32_e64 v63, 0, v63, s[46:47]
	v_cndmask_b32_e64 v62, 0, v62, s[46:47]
	v_cndmask_b32_e64 v57, 0, v57, s[48:49]
	v_cndmask_b32_e64 v56, 0, v56, s[48:49]
	v_cndmask_b32_e64 v55, 0, v55, s[48:49]
	v_cndmask_b32_e64 v54, 0, v54, s[48:49]
	v_cndmask_b32_e64 v53, 0, v53, s[50:51]
	v_cndmask_b32_e64 v52, 0, v52, s[50:51]
	v_cndmask_b32_e64 v51, 0, v51, s[50:51]
	v_cndmask_b32_e64 v50, 0, v50, s[50:51]
	v_cndmask_b32_e64 v49, 0, v49, s[52:53]
	v_cndmask_b32_e64 v48, 0, v48, s[52:53]
	v_cndmask_b32_e64 v47, 0, v47, s[52:53]
	v_cndmask_b32_e64 v46, 0, v46, s[52:53]
	v_cndmask_b32_e64 v45, 0, v45, s[54:55]
	v_cndmask_b32_e64 v44, 0, v44, s[54:55]
	v_cndmask_b32_e64 v43, 0, v43, s[54:55]
	v_cndmask_b32_e64 v42, 0, v42, s[54:55]
	v_cndmask_b32_e64 v37, 0, v37, s[56:57]
	v_cndmask_b32_e64 v36, 0, v36, s[56:57]
	v_cndmask_b32_e64 v35, 0, v35, s[56:57]
	v_cndmask_b32_e64 v34, 0, v34, s[56:57]
	v_cndmask_b32_e64 v29, 0, v29, s[58:59]
	v_cndmask_b32_e64 v28, 0, v28, s[58:59]
	v_cndmask_b32_e64 v27, 0, v27, s[58:59]
	v_cndmask_b32_e64 v26, 0, v26, s[58:59]
	s_waitcnt vmcnt(0)
	v_add3_u32 v1, v1, v10, v142
	scratch_load_dword v10, off, off offset:432 ; 4-byte Folded Reload
	scratch_load_dword v11, off, off offset:436 ; 4-byte Folded Reload
	ds_write_b128 v0, v[118:121] offset:512
	v_add3_u32 v0, v0, s0, v254
	ds_write_b128 v0, v[126:129] offset:512
	v_add3_u32 v0, v0, s0, v13
	s_waitcnt vmcnt(0)
	v_add3_u32 v1, v1, v10, v11
	scratch_load_dword v10, off, off offset:440 ; 4-byte Folded Reload
	scratch_load_dword v11, off, off offset:444 ; 4-byte Folded Reload
	ds_write_b128 v0, v[130:133] offset:512
	v_add3_u32 v0, v0, s0, v163
	ds_write_b128 v0, v[122:125] offset:512
	v_add3_u32 v0, v0, s0, v183
	;; [unrolled: 8-line block ×4, first 2 shown]
	s_waitcnt vmcnt(0)
	v_add3_u32 v1, v1, v11, v10
	scratch_load_dword v10, off, off offset:468 ; 4-byte Folded Reload
	scratch_load_dword v11, off, off offset:464 ; 4-byte Folded Reload
	ds_write_b128 v0, v[90:93] offset:512
	v_add3_u32 v0, v0, s0, v184
	ds_write_b128 v0, v[86:89] offset:512
	scratch_load_dword v0, off, off offset:472 ; 4-byte Folded Reload
	s_waitcnt vmcnt(1)
	v_add3_u32 v1, v1, v11, v10
	scratch_load_dwordx4 v[10:13], off, off offset:88 ; 16-byte Folded Reload
	s_waitcnt vmcnt(0)
	v_cndmask_b32_e64 v17, 0, v13, s[30:31]
	v_cndmask_b32_e64 v16, 0, v12, s[30:31]
	;; [unrolled: 1-line block ×4, first 2 shown]
	scratch_load_dwordx4 v[10:13], off, off offset:56 ; 16-byte Folded Reload
	v_add_lshl_u32 v0, v1, v0, 1
	scratch_load_dword v1, off, off offset:360 ; 4-byte Folded Reload
	s_waitcnt vmcnt(1)
	v_cndmask_b32_e64 v61, 0, v13, s[34:35]
	v_cndmask_b32_e64 v60, 0, v12, s[34:35]
	;; [unrolled: 1-line block ×4, first 2 shown]
	scratch_load_dwordx4 v[10:13], off, off offset:40 ; 16-byte Folded Reload
	s_waitcnt vmcnt(1)
	v_lshl_add_u32 v0, v1, 1, v0
	ds_write_b128 v0, v[82:85] offset:1024
	s_waitcnt vmcnt(0)
	v_cndmask_b32_e64 v69, 0, v13, s[36:37]
	v_cndmask_b32_e64 v68, 0, v12, s[36:37]
	;; [unrolled: 1-line block ×4, first 2 shown]
	scratch_load_dwordx4 v[10:13], off, off offset:120 ; 16-byte Folded Reload
	s_waitcnt vmcnt(0)
	v_cndmask_b32_e64 v21, 0, v13, s[60:61]
	v_cndmask_b32_e64 v20, 0, v12, s[60:61]
	;; [unrolled: 1-line block ×4, first 2 shown]
	scratch_load_dwordx4 v[10:13], off, off offset:72 ; 16-byte Folded Reload
	s_waitcnt vmcnt(0)
	v_cndmask_b32_e64 v81, 0, v13, s[62:63]
	v_cndmask_b32_e64 v80, 0, v12, s[62:63]
	;; [unrolled: 1-line block ×4, first 2 shown]
	ds_write_b128 v228, v[22:25] offset:16896
	ds_write_b128 v144, v[14:17] offset:16896
	;; [unrolled: 1-line block ×16, first 2 shown]
	s_waitcnt lgkmcnt(0)
	; wave barrier
	scratch_load_dword v0, off, off offset:332 ; 4-byte Folded Reload
	s_waitcnt vmcnt(0)
	ds_read_b128 v[14:17], v0
	ds_read_b128 v[18:21], v0 offset:16384
	scratch_load_dword v0, off, off offset:352 ; 4-byte Folded Reload
	s_waitcnt vmcnt(0)
	ds_read_b128 v[22:25], v0
	ds_read_b128 v[26:29], v0 offset:16384
	scratch_load_dword v0, off, off offset:348 ; 4-byte Folded Reload
	s_waitcnt vmcnt(0)
	ds_read_b128 v[34:37], v0
	ds_read_b128 v[38:41], v0 offset:16384
	scratch_load_dword v0, off, off offset:344 ; 4-byte Folded Reload
	s_waitcnt vmcnt(0)
	ds_read_b128 v[42:45], v0
	ds_read_b128 v[46:49], v0 offset:16384
	scratch_load_dword v0, off, off offset:340 ; 4-byte Folded Reload
	s_waitcnt vmcnt(0)
	ds_read_b128 v[50:53], v0
	ds_read_b128 v[54:57], v0 offset:16384
	scratch_load_dword v0, off, off offset:336 ; 4-byte Folded Reload
	s_waitcnt vmcnt(0)
	ds_read_b128 v[58:61], v0
	ds_read_b128 v[62:65], v0 offset:16384
	scratch_load_dword v0, off, off offset:4 ; 4-byte Folded Reload
	s_waitcnt vmcnt(0)
	ds_read_b128 v[66:69], v0
	ds_read_b128 v[70:73], v0 offset:16384
	scratch_load_dword v0, off, off         ; 4-byte Folded Reload
	s_waitcnt vmcnt(0)
	ds_read_b128 v[74:77], v0
	ds_read_b128 v[78:81], v0 offset:16384
	scratch_load_dword v0, off, off offset:36 ; 4-byte Folded Reload
	s_waitcnt vmcnt(0)
	ds_read_b128 v[82:85], v0 offset:8192
	ds_read_b128 v[86:89], v0 offset:24576
	scratch_load_dword v0, off, off offset:32 ; 4-byte Folded Reload
	s_waitcnt vmcnt(0)
	ds_read_b128 v[90:93], v0 offset:8192
	;; [unrolled: 4-line block ×8, first 2 shown]
	ds_read_b128 v[142:145], v0 offset:24576
	; sched_barrier mask(0x00000000)
	; wave barrier
	; sched_barrier mask(0x00000000)
	s_waitcnt lgkmcnt(14)
	v_mfma_f32_16x16x32_f16 v[10:13], v[14:17], v[18:21], v[146:149]
	; sched_barrier mask(0x00000000)
	s_setprio 1
	; sched_barrier mask(0x00000000)
	v_mfma_f32_16x16x32_f16 v[0:3], v[14:17], v[86:89], v[2:5]
	v_mfma_f32_16x16x32_f16 v[4:7], v[82:85], v[18:21], v[6:9]
	v_mfma_f32_16x16x32_f16 v[14:17], v[82:85], v[86:89], v[30:33]
	v_mfma_f32_16x16x32_f16 v[8:11], v[22:25], v[26:29], v[10:13]
	s_waitcnt lgkmcnt(12)
	v_mfma_f32_16x16x32_f16 v[0:3], v[22:25], v[94:97], v[0:3]
	v_mfma_f32_16x16x32_f16 v[4:7], v[90:93], v[26:29], v[4:7]
	v_mfma_f32_16x16x32_f16 v[12:15], v[90:93], v[94:97], v[14:17]
	v_mfma_f32_16x16x32_f16 v[8:11], v[34:37], v[38:41], v[8:11]
	s_waitcnt lgkmcnt(10)
	;; [unrolled: 5-line block ×7, first 2 shown]
	v_mfma_f32_16x16x32_f16 v[0:3], v[74:77], v[142:145], v[0:3]
	v_mfma_f32_16x16x32_f16 v[4:7], v[138:141], v[78:81], v[4:7]
	; sched_barrier mask(0x00000000)
	s_waitcnt lgkmcnt(0)
	; wave barrier
	; sched_barrier mask(0x00000000)
	v_mfma_f32_16x16x32_f16 v[12:15], v[138:141], v[142:145], v[12:15]
	; sched_barrier mask(0x00000000)
	s_setprio 0
	; sched_barrier mask(0x00000000)
	scratch_load_dword v16, off, off offset:480 ; 4-byte Folded Reload
	s_nop 0
	v_cvt_f16_f32_e32 v8, v8
	v_cvt_f16_f32_e32 v9, v9
	;; [unrolled: 1-line block ×4, first 2 shown]
	s_add_i32 s2, s65, s67
	v_cvt_f16_f32_e32 v0, v0
	s_lshl_b32 s74, s2, 1
	v_cvt_f16_f32_e32 v1, v1
	v_cvt_f16_f32_e32 v2, v2
	s_mov_b32 s75, 0x20000
	v_cvt_f16_f32_e32 v3, v3
	s_lshl_b32 s4, s69, 4
	s_waitcnt vmcnt(0)
	v_lshrrev_b32_e32 v17, 2, v16
	scratch_load_dword v16, off, off offset:492 ; 4-byte Folded Reload
	v_lshl_or_b32 v21, s33, 5, v17
	s_waitcnt lgkmcnt(0)
	; wave barrier
	scratch_load_dword v22, off, off offset:488 ; 4-byte Folded Reload
	s_waitcnt vmcnt(1)
	v_and_b32_e32 v20, 12, v16
	v_or_b32_e32 v16, s66, v20
	v_mad_u64_u32 v[18:19], s[0:1], v21, s69, v[16:17]
	scratch_load_dword v19, off, off offset:484 ; 4-byte Folded Reload
	v_cmp_gt_i32_e32 vcc, s65, v16
	v_cmp_gt_i32_e64 s[0:1], s64, v21
	s_and_b64 s[2:3], s[0:1], vcc
	s_waitcnt vmcnt(0)
	v_lshlrev_b32_e32 v19, 1, v19
	v_lshl_add_u32 v19, v22, 1, v19
	ds_write_b16 v19, v8
	ds_write_b16 v19, v9 offset:32
	ds_write_b16 v19, v10 offset:64
	ds_write_b16 v19, v11 offset:96
	v_lshlrev_b32_e32 v8, 1, v20
	v_lshl_or_b32 v10, v17, 5, v8
	s_waitcnt lgkmcnt(0)
	; wave barrier
	ds_read_b64 v[8:9], v10
	v_bfrev_b32_e32 v11, 1
	v_cndmask_b32_e64 v17, v11, 0, s[2:3]
	v_lshl_add_u32 v17, v18, 1, v17
	s_waitcnt lgkmcnt(0)
	buffer_atomic_pk_add_f16 v8, v17, s[72:75], 0 offen
	buffer_atomic_pk_add_f16 v9, v17, s[72:75], 4 offen
	v_or_b32_e32 v8, 16, v16
	s_waitcnt lgkmcnt(0)
	; wave barrier
	ds_write_b16 v19, v0
	ds_write_b16 v19, v1 offset:32
	ds_write_b16 v19, v2 offset:64
	;; [unrolled: 1-line block ×3, first 2 shown]
	s_waitcnt lgkmcnt(0)
	; wave barrier
	ds_read_b64 v[0:1], v10
	v_cmp_gt_i32_e64 s[2:3], s65, v8
	s_and_b64 s[0:1], s[0:1], s[2:3]
	v_add_u32_e32 v9, 16, v18
	v_cndmask_b32_e64 v2, v11, 0, s[0:1]
	v_lshl_add_u32 v2, v9, 1, v2
	s_waitcnt lgkmcnt(0)
	buffer_atomic_pk_add_f16 v0, v2, s[72:75], 0 offen
	buffer_atomic_pk_add_f16 v1, v2, s[72:75], 4 offen
	v_cvt_f16_f32_e32 v0, v12
	v_cvt_f16_f32_e32 v1, v13
	;; [unrolled: 1-line block ×3, first 2 shown]
	v_add_u32_e32 v3, s4, v9
	v_cvt_f16_f32_e32 v9, v15
	v_or_b32_e32 v2, 16, v21
	s_waitcnt lgkmcnt(0)
	; wave barrier
	ds_write_b16 v19, v0
	ds_write_b16 v19, v1 offset:32
	ds_write_b16 v19, v8 offset:64
	;; [unrolled: 1-line block ×3, first 2 shown]
	s_waitcnt lgkmcnt(0)
	; wave barrier
	ds_read_b64 v[0:1], v10
	v_cmp_gt_i32_e64 s[0:1], s64, v2
	s_and_b64 s[2:3], s[0:1], s[2:3]
	v_cndmask_b32_e64 v2, v11, 0, s[2:3]
	v_lshl_add_u32 v2, v3, 1, v2
	s_waitcnt lgkmcnt(0)
	buffer_atomic_pk_add_f16 v0, v2, s[72:75], 0 offen
	buffer_atomic_pk_add_f16 v1, v2, s[72:75], 4 offen
	v_cvt_f16_f32_e32 v0, v4
	v_cvt_f16_f32_e32 v1, v5
	;; [unrolled: 1-line block ×4, first 2 shown]
	s_waitcnt lgkmcnt(0)
	; wave barrier
	ds_write_b16 v19, v0
	ds_write_b16 v19, v1 offset:32
	ds_write_b16 v19, v2 offset:64
	;; [unrolled: 1-line block ×3, first 2 shown]
	s_waitcnt lgkmcnt(0)
	; wave barrier
	ds_read_b64 v[0:1], v10
	s_and_b64 s[0:1], vcc, s[0:1]
	v_add_u32_e32 v2, s4, v18
	v_cndmask_b32_e64 v3, v11, 0, s[0:1]
	v_lshl_add_u32 v2, v2, 1, v3
	s_waitcnt lgkmcnt(0)
	buffer_atomic_pk_add_f16 v0, v2, s[72:75], 0 offen
	buffer_atomic_pk_add_f16 v1, v2, s[72:75], 4 offen
	s_endpgm
	.section	.rodata,"a",@progbits
	.p2align	6, 0x0
	.amdhsa_kernel _ZN2ck27kernel_gemm_xdl_cshuffle_v3INS_28GridwiseGemm_xdl_cshuffle_v3INS_13tensor_layout4gemm8RowMajorENS3_11ColumnMajorES4_DF16_DF16_fDF16_DF16_NS_16tensor_operation12element_wise11PassThroughES8_S8_LNS6_6device18GemmSpecializationE4ELi64ELi32ELi32ELi256ELi8ELi8ELi16ELi16ELi2ELi2ENS_8SequenceIJLi32ELi2ELi1EEEENSB_IJLi1ELi0ELi2EEEESD_Li2ELi8ELi8ELb0ELi0ESC_SD_SD_Li2ELi8ELi8ELb0ELi0ELi1ELi1ENSB_IJLi1ELi16ELi1ELi4EEEELi4ELNS_26BlockGemmPipelineSchedulerE1ELNS_24BlockGemmPipelineVersionE1EDF16_DF16_Lb0ELb0ELb0ELi0ELb0EEELb1ELNS_25InMemoryDataOperationEnumE1ELi2ELNS_10TailNumberE10EEEvNT_8ArgumentE
		.amdhsa_group_segment_fixed_size 32768
		.amdhsa_private_segment_fixed_size 504
		.amdhsa_kernarg_size 112
		.amdhsa_user_sgpr_count 2
		.amdhsa_user_sgpr_dispatch_ptr 0
		.amdhsa_user_sgpr_queue_ptr 0
		.amdhsa_user_sgpr_kernarg_segment_ptr 1
		.amdhsa_user_sgpr_dispatch_id 0
		.amdhsa_user_sgpr_kernarg_preload_length 0
		.amdhsa_user_sgpr_kernarg_preload_offset 0
		.amdhsa_user_sgpr_private_segment_size 0
		.amdhsa_uses_dynamic_stack 0
		.amdhsa_enable_private_segment 1
		.amdhsa_system_sgpr_workgroup_id_x 1
		.amdhsa_system_sgpr_workgroup_id_y 0
		.amdhsa_system_sgpr_workgroup_id_z 1
		.amdhsa_system_sgpr_workgroup_info 0
		.amdhsa_system_vgpr_workitem_id 0
		.amdhsa_next_free_vgpr 256
		.amdhsa_next_free_sgpr 96
		.amdhsa_accum_offset 256
		.amdhsa_reserve_vcc 1
		.amdhsa_float_round_mode_32 0
		.amdhsa_float_round_mode_16_64 0
		.amdhsa_float_denorm_mode_32 3
		.amdhsa_float_denorm_mode_16_64 3
		.amdhsa_dx10_clamp 1
		.amdhsa_ieee_mode 1
		.amdhsa_fp16_overflow 0
		.amdhsa_tg_split 0
		.amdhsa_exception_fp_ieee_invalid_op 0
		.amdhsa_exception_fp_denorm_src 0
		.amdhsa_exception_fp_ieee_div_zero 0
		.amdhsa_exception_fp_ieee_overflow 0
		.amdhsa_exception_fp_ieee_underflow 0
		.amdhsa_exception_fp_ieee_inexact 0
		.amdhsa_exception_int_div_zero 0
	.end_amdhsa_kernel
	.section	.text._ZN2ck27kernel_gemm_xdl_cshuffle_v3INS_28GridwiseGemm_xdl_cshuffle_v3INS_13tensor_layout4gemm8RowMajorENS3_11ColumnMajorES4_DF16_DF16_fDF16_DF16_NS_16tensor_operation12element_wise11PassThroughES8_S8_LNS6_6device18GemmSpecializationE4ELi64ELi32ELi32ELi256ELi8ELi8ELi16ELi16ELi2ELi2ENS_8SequenceIJLi32ELi2ELi1EEEENSB_IJLi1ELi0ELi2EEEESD_Li2ELi8ELi8ELb0ELi0ESC_SD_SD_Li2ELi8ELi8ELb0ELi0ELi1ELi1ENSB_IJLi1ELi16ELi1ELi4EEEELi4ELNS_26BlockGemmPipelineSchedulerE1ELNS_24BlockGemmPipelineVersionE1EDF16_DF16_Lb0ELb0ELb0ELi0ELb0EEELb1ELNS_25InMemoryDataOperationEnumE1ELi2ELNS_10TailNumberE10EEEvNT_8ArgumentE,"axG",@progbits,_ZN2ck27kernel_gemm_xdl_cshuffle_v3INS_28GridwiseGemm_xdl_cshuffle_v3INS_13tensor_layout4gemm8RowMajorENS3_11ColumnMajorES4_DF16_DF16_fDF16_DF16_NS_16tensor_operation12element_wise11PassThroughES8_S8_LNS6_6device18GemmSpecializationE4ELi64ELi32ELi32ELi256ELi8ELi8ELi16ELi16ELi2ELi2ENS_8SequenceIJLi32ELi2ELi1EEEENSB_IJLi1ELi0ELi2EEEESD_Li2ELi8ELi8ELb0ELi0ESC_SD_SD_Li2ELi8ELi8ELb0ELi0ELi1ELi1ENSB_IJLi1ELi16ELi1ELi4EEEELi4ELNS_26BlockGemmPipelineSchedulerE1ELNS_24BlockGemmPipelineVersionE1EDF16_DF16_Lb0ELb0ELb0ELi0ELb0EEELb1ELNS_25InMemoryDataOperationEnumE1ELi2ELNS_10TailNumberE10EEEvNT_8ArgumentE,comdat
.Lfunc_end2:
	.size	_ZN2ck27kernel_gemm_xdl_cshuffle_v3INS_28GridwiseGemm_xdl_cshuffle_v3INS_13tensor_layout4gemm8RowMajorENS3_11ColumnMajorES4_DF16_DF16_fDF16_DF16_NS_16tensor_operation12element_wise11PassThroughES8_S8_LNS6_6device18GemmSpecializationE4ELi64ELi32ELi32ELi256ELi8ELi8ELi16ELi16ELi2ELi2ENS_8SequenceIJLi32ELi2ELi1EEEENSB_IJLi1ELi0ELi2EEEESD_Li2ELi8ELi8ELb0ELi0ESC_SD_SD_Li2ELi8ELi8ELb0ELi0ELi1ELi1ENSB_IJLi1ELi16ELi1ELi4EEEELi4ELNS_26BlockGemmPipelineSchedulerE1ELNS_24BlockGemmPipelineVersionE1EDF16_DF16_Lb0ELb0ELb0ELi0ELb0EEELb1ELNS_25InMemoryDataOperationEnumE1ELi2ELNS_10TailNumberE10EEEvNT_8ArgumentE, .Lfunc_end2-_ZN2ck27kernel_gemm_xdl_cshuffle_v3INS_28GridwiseGemm_xdl_cshuffle_v3INS_13tensor_layout4gemm8RowMajorENS3_11ColumnMajorES4_DF16_DF16_fDF16_DF16_NS_16tensor_operation12element_wise11PassThroughES8_S8_LNS6_6device18GemmSpecializationE4ELi64ELi32ELi32ELi256ELi8ELi8ELi16ELi16ELi2ELi2ENS_8SequenceIJLi32ELi2ELi1EEEENSB_IJLi1ELi0ELi2EEEESD_Li2ELi8ELi8ELb0ELi0ESC_SD_SD_Li2ELi8ELi8ELb0ELi0ELi1ELi1ENSB_IJLi1ELi16ELi1ELi4EEEELi4ELNS_26BlockGemmPipelineSchedulerE1ELNS_24BlockGemmPipelineVersionE1EDF16_DF16_Lb0ELb0ELb0ELi0ELb0EEELb1ELNS_25InMemoryDataOperationEnumE1ELi2ELNS_10TailNumberE10EEEvNT_8ArgumentE
                                        ; -- End function
	.set _ZN2ck27kernel_gemm_xdl_cshuffle_v3INS_28GridwiseGemm_xdl_cshuffle_v3INS_13tensor_layout4gemm8RowMajorENS3_11ColumnMajorES4_DF16_DF16_fDF16_DF16_NS_16tensor_operation12element_wise11PassThroughES8_S8_LNS6_6device18GemmSpecializationE4ELi64ELi32ELi32ELi256ELi8ELi8ELi16ELi16ELi2ELi2ENS_8SequenceIJLi32ELi2ELi1EEEENSB_IJLi1ELi0ELi2EEEESD_Li2ELi8ELi8ELb0ELi0ESC_SD_SD_Li2ELi8ELi8ELb0ELi0ELi1ELi1ENSB_IJLi1ELi16ELi1ELi4EEEELi4ELNS_26BlockGemmPipelineSchedulerE1ELNS_24BlockGemmPipelineVersionE1EDF16_DF16_Lb0ELb0ELb0ELi0ELb0EEELb1ELNS_25InMemoryDataOperationEnumE1ELi2ELNS_10TailNumberE10EEEvNT_8ArgumentE.num_vgpr, 256
	.set _ZN2ck27kernel_gemm_xdl_cshuffle_v3INS_28GridwiseGemm_xdl_cshuffle_v3INS_13tensor_layout4gemm8RowMajorENS3_11ColumnMajorES4_DF16_DF16_fDF16_DF16_NS_16tensor_operation12element_wise11PassThroughES8_S8_LNS6_6device18GemmSpecializationE4ELi64ELi32ELi32ELi256ELi8ELi8ELi16ELi16ELi2ELi2ENS_8SequenceIJLi32ELi2ELi1EEEENSB_IJLi1ELi0ELi2EEEESD_Li2ELi8ELi8ELb0ELi0ESC_SD_SD_Li2ELi8ELi8ELb0ELi0ELi1ELi1ENSB_IJLi1ELi16ELi1ELi4EEEELi4ELNS_26BlockGemmPipelineSchedulerE1ELNS_24BlockGemmPipelineVersionE1EDF16_DF16_Lb0ELb0ELb0ELi0ELb0EEELb1ELNS_25InMemoryDataOperationEnumE1ELi2ELNS_10TailNumberE10EEEvNT_8ArgumentE.num_agpr, 0
	.set _ZN2ck27kernel_gemm_xdl_cshuffle_v3INS_28GridwiseGemm_xdl_cshuffle_v3INS_13tensor_layout4gemm8RowMajorENS3_11ColumnMajorES4_DF16_DF16_fDF16_DF16_NS_16tensor_operation12element_wise11PassThroughES8_S8_LNS6_6device18GemmSpecializationE4ELi64ELi32ELi32ELi256ELi8ELi8ELi16ELi16ELi2ELi2ENS_8SequenceIJLi32ELi2ELi1EEEENSB_IJLi1ELi0ELi2EEEESD_Li2ELi8ELi8ELb0ELi0ESC_SD_SD_Li2ELi8ELi8ELb0ELi0ELi1ELi1ENSB_IJLi1ELi16ELi1ELi4EEEELi4ELNS_26BlockGemmPipelineSchedulerE1ELNS_24BlockGemmPipelineVersionE1EDF16_DF16_Lb0ELb0ELb0ELi0ELb0EEELb1ELNS_25InMemoryDataOperationEnumE1ELi2ELNS_10TailNumberE10EEEvNT_8ArgumentE.numbered_sgpr, 94
	.set _ZN2ck27kernel_gemm_xdl_cshuffle_v3INS_28GridwiseGemm_xdl_cshuffle_v3INS_13tensor_layout4gemm8RowMajorENS3_11ColumnMajorES4_DF16_DF16_fDF16_DF16_NS_16tensor_operation12element_wise11PassThroughES8_S8_LNS6_6device18GemmSpecializationE4ELi64ELi32ELi32ELi256ELi8ELi8ELi16ELi16ELi2ELi2ENS_8SequenceIJLi32ELi2ELi1EEEENSB_IJLi1ELi0ELi2EEEESD_Li2ELi8ELi8ELb0ELi0ESC_SD_SD_Li2ELi8ELi8ELb0ELi0ELi1ELi1ENSB_IJLi1ELi16ELi1ELi4EEEELi4ELNS_26BlockGemmPipelineSchedulerE1ELNS_24BlockGemmPipelineVersionE1EDF16_DF16_Lb0ELb0ELb0ELi0ELb0EEELb1ELNS_25InMemoryDataOperationEnumE1ELi2ELNS_10TailNumberE10EEEvNT_8ArgumentE.num_named_barrier, 0
	.set _ZN2ck27kernel_gemm_xdl_cshuffle_v3INS_28GridwiseGemm_xdl_cshuffle_v3INS_13tensor_layout4gemm8RowMajorENS3_11ColumnMajorES4_DF16_DF16_fDF16_DF16_NS_16tensor_operation12element_wise11PassThroughES8_S8_LNS6_6device18GemmSpecializationE4ELi64ELi32ELi32ELi256ELi8ELi8ELi16ELi16ELi2ELi2ENS_8SequenceIJLi32ELi2ELi1EEEENSB_IJLi1ELi0ELi2EEEESD_Li2ELi8ELi8ELb0ELi0ESC_SD_SD_Li2ELi8ELi8ELb0ELi0ELi1ELi1ENSB_IJLi1ELi16ELi1ELi4EEEELi4ELNS_26BlockGemmPipelineSchedulerE1ELNS_24BlockGemmPipelineVersionE1EDF16_DF16_Lb0ELb0ELb0ELi0ELb0EEELb1ELNS_25InMemoryDataOperationEnumE1ELi2ELNS_10TailNumberE10EEEvNT_8ArgumentE.private_seg_size, 504
	.set _ZN2ck27kernel_gemm_xdl_cshuffle_v3INS_28GridwiseGemm_xdl_cshuffle_v3INS_13tensor_layout4gemm8RowMajorENS3_11ColumnMajorES4_DF16_DF16_fDF16_DF16_NS_16tensor_operation12element_wise11PassThroughES8_S8_LNS6_6device18GemmSpecializationE4ELi64ELi32ELi32ELi256ELi8ELi8ELi16ELi16ELi2ELi2ENS_8SequenceIJLi32ELi2ELi1EEEENSB_IJLi1ELi0ELi2EEEESD_Li2ELi8ELi8ELb0ELi0ESC_SD_SD_Li2ELi8ELi8ELb0ELi0ELi1ELi1ENSB_IJLi1ELi16ELi1ELi4EEEELi4ELNS_26BlockGemmPipelineSchedulerE1ELNS_24BlockGemmPipelineVersionE1EDF16_DF16_Lb0ELb0ELb0ELi0ELb0EEELb1ELNS_25InMemoryDataOperationEnumE1ELi2ELNS_10TailNumberE10EEEvNT_8ArgumentE.uses_vcc, 1
	.set _ZN2ck27kernel_gemm_xdl_cshuffle_v3INS_28GridwiseGemm_xdl_cshuffle_v3INS_13tensor_layout4gemm8RowMajorENS3_11ColumnMajorES4_DF16_DF16_fDF16_DF16_NS_16tensor_operation12element_wise11PassThroughES8_S8_LNS6_6device18GemmSpecializationE4ELi64ELi32ELi32ELi256ELi8ELi8ELi16ELi16ELi2ELi2ENS_8SequenceIJLi32ELi2ELi1EEEENSB_IJLi1ELi0ELi2EEEESD_Li2ELi8ELi8ELb0ELi0ESC_SD_SD_Li2ELi8ELi8ELb0ELi0ELi1ELi1ENSB_IJLi1ELi16ELi1ELi4EEEELi4ELNS_26BlockGemmPipelineSchedulerE1ELNS_24BlockGemmPipelineVersionE1EDF16_DF16_Lb0ELb0ELb0ELi0ELb0EEELb1ELNS_25InMemoryDataOperationEnumE1ELi2ELNS_10TailNumberE10EEEvNT_8ArgumentE.uses_flat_scratch, 0
	.set _ZN2ck27kernel_gemm_xdl_cshuffle_v3INS_28GridwiseGemm_xdl_cshuffle_v3INS_13tensor_layout4gemm8RowMajorENS3_11ColumnMajorES4_DF16_DF16_fDF16_DF16_NS_16tensor_operation12element_wise11PassThroughES8_S8_LNS6_6device18GemmSpecializationE4ELi64ELi32ELi32ELi256ELi8ELi8ELi16ELi16ELi2ELi2ENS_8SequenceIJLi32ELi2ELi1EEEENSB_IJLi1ELi0ELi2EEEESD_Li2ELi8ELi8ELb0ELi0ESC_SD_SD_Li2ELi8ELi8ELb0ELi0ELi1ELi1ENSB_IJLi1ELi16ELi1ELi4EEEELi4ELNS_26BlockGemmPipelineSchedulerE1ELNS_24BlockGemmPipelineVersionE1EDF16_DF16_Lb0ELb0ELb0ELi0ELb0EEELb1ELNS_25InMemoryDataOperationEnumE1ELi2ELNS_10TailNumberE10EEEvNT_8ArgumentE.has_dyn_sized_stack, 0
	.set _ZN2ck27kernel_gemm_xdl_cshuffle_v3INS_28GridwiseGemm_xdl_cshuffle_v3INS_13tensor_layout4gemm8RowMajorENS3_11ColumnMajorES4_DF16_DF16_fDF16_DF16_NS_16tensor_operation12element_wise11PassThroughES8_S8_LNS6_6device18GemmSpecializationE4ELi64ELi32ELi32ELi256ELi8ELi8ELi16ELi16ELi2ELi2ENS_8SequenceIJLi32ELi2ELi1EEEENSB_IJLi1ELi0ELi2EEEESD_Li2ELi8ELi8ELb0ELi0ESC_SD_SD_Li2ELi8ELi8ELb0ELi0ELi1ELi1ENSB_IJLi1ELi16ELi1ELi4EEEELi4ELNS_26BlockGemmPipelineSchedulerE1ELNS_24BlockGemmPipelineVersionE1EDF16_DF16_Lb0ELb0ELb0ELi0ELb0EEELb1ELNS_25InMemoryDataOperationEnumE1ELi2ELNS_10TailNumberE10EEEvNT_8ArgumentE.has_recursion, 0
	.set _ZN2ck27kernel_gemm_xdl_cshuffle_v3INS_28GridwiseGemm_xdl_cshuffle_v3INS_13tensor_layout4gemm8RowMajorENS3_11ColumnMajorES4_DF16_DF16_fDF16_DF16_NS_16tensor_operation12element_wise11PassThroughES8_S8_LNS6_6device18GemmSpecializationE4ELi64ELi32ELi32ELi256ELi8ELi8ELi16ELi16ELi2ELi2ENS_8SequenceIJLi32ELi2ELi1EEEENSB_IJLi1ELi0ELi2EEEESD_Li2ELi8ELi8ELb0ELi0ESC_SD_SD_Li2ELi8ELi8ELb0ELi0ELi1ELi1ENSB_IJLi1ELi16ELi1ELi4EEEELi4ELNS_26BlockGemmPipelineSchedulerE1ELNS_24BlockGemmPipelineVersionE1EDF16_DF16_Lb0ELb0ELb0ELi0ELb0EEELb1ELNS_25InMemoryDataOperationEnumE1ELi2ELNS_10TailNumberE10EEEvNT_8ArgumentE.has_indirect_call, 0
	.section	.AMDGPU.csdata,"",@progbits
; Kernel info:
; codeLenInByte = 16172
; TotalNumSgprs: 100
; NumVgprs: 256
; NumAgprs: 0
; TotalNumVgprs: 256
; ScratchSize: 504
; MemoryBound: 0
; FloatMode: 240
; IeeeMode: 1
; LDSByteSize: 32768 bytes/workgroup (compile time only)
; SGPRBlocks: 12
; VGPRBlocks: 31
; NumSGPRsForWavesPerEU: 102
; NumVGPRsForWavesPerEU: 256
; AccumOffset: 256
; Occupancy: 2
; WaveLimiterHint : 0
; COMPUTE_PGM_RSRC2:SCRATCH_EN: 1
; COMPUTE_PGM_RSRC2:USER_SGPR: 2
; COMPUTE_PGM_RSRC2:TRAP_HANDLER: 0
; COMPUTE_PGM_RSRC2:TGID_X_EN: 1
; COMPUTE_PGM_RSRC2:TGID_Y_EN: 0
; COMPUTE_PGM_RSRC2:TGID_Z_EN: 1
; COMPUTE_PGM_RSRC2:TIDIG_COMP_CNT: 0
; COMPUTE_PGM_RSRC3_GFX90A:ACCUM_OFFSET: 63
; COMPUTE_PGM_RSRC3_GFX90A:TG_SPLIT: 0
	.section	.text._ZN2ck27kernel_gemm_xdl_cshuffle_v3INS_28GridwiseGemm_xdl_cshuffle_v3INS_13tensor_layout4gemm8RowMajorENS3_11ColumnMajorES4_DF16_DF16_fDF16_DF16_NS_16tensor_operation12element_wise11PassThroughES8_S8_LNS6_6device18GemmSpecializationE4ELi64ELi32ELi32ELi256ELi8ELi8ELi16ELi16ELi2ELi2ENS_8SequenceIJLi32ELi2ELi1EEEENSB_IJLi1ELi0ELi2EEEESD_Li2ELi8ELi8ELb0ELi0ESC_SD_SD_Li2ELi8ELi8ELb0ELi0ELi1ELi1ENSB_IJLi1ELi16ELi1ELi4EEEELi4ELNS_26BlockGemmPipelineSchedulerE1ELNS_24BlockGemmPipelineVersionE1EDF16_DF16_Lb0ELb0ELb0ELi0ELb0EEELb1ELNS_25InMemoryDataOperationEnumE0ELi2ELNS_10TailNumberE2EEEvNT_8ArgumentE,"axG",@progbits,_ZN2ck27kernel_gemm_xdl_cshuffle_v3INS_28GridwiseGemm_xdl_cshuffle_v3INS_13tensor_layout4gemm8RowMajorENS3_11ColumnMajorES4_DF16_DF16_fDF16_DF16_NS_16tensor_operation12element_wise11PassThroughES8_S8_LNS6_6device18GemmSpecializationE4ELi64ELi32ELi32ELi256ELi8ELi8ELi16ELi16ELi2ELi2ENS_8SequenceIJLi32ELi2ELi1EEEENSB_IJLi1ELi0ELi2EEEESD_Li2ELi8ELi8ELb0ELi0ESC_SD_SD_Li2ELi8ELi8ELb0ELi0ELi1ELi1ENSB_IJLi1ELi16ELi1ELi4EEEELi4ELNS_26BlockGemmPipelineSchedulerE1ELNS_24BlockGemmPipelineVersionE1EDF16_DF16_Lb0ELb0ELb0ELi0ELb0EEELb1ELNS_25InMemoryDataOperationEnumE0ELi2ELNS_10TailNumberE2EEEvNT_8ArgumentE,comdat
	.protected	_ZN2ck27kernel_gemm_xdl_cshuffle_v3INS_28GridwiseGemm_xdl_cshuffle_v3INS_13tensor_layout4gemm8RowMajorENS3_11ColumnMajorES4_DF16_DF16_fDF16_DF16_NS_16tensor_operation12element_wise11PassThroughES8_S8_LNS6_6device18GemmSpecializationE4ELi64ELi32ELi32ELi256ELi8ELi8ELi16ELi16ELi2ELi2ENS_8SequenceIJLi32ELi2ELi1EEEENSB_IJLi1ELi0ELi2EEEESD_Li2ELi8ELi8ELb0ELi0ESC_SD_SD_Li2ELi8ELi8ELb0ELi0ELi1ELi1ENSB_IJLi1ELi16ELi1ELi4EEEELi4ELNS_26BlockGemmPipelineSchedulerE1ELNS_24BlockGemmPipelineVersionE1EDF16_DF16_Lb0ELb0ELb0ELi0ELb0EEELb1ELNS_25InMemoryDataOperationEnumE0ELi2ELNS_10TailNumberE2EEEvNT_8ArgumentE ; -- Begin function _ZN2ck27kernel_gemm_xdl_cshuffle_v3INS_28GridwiseGemm_xdl_cshuffle_v3INS_13tensor_layout4gemm8RowMajorENS3_11ColumnMajorES4_DF16_DF16_fDF16_DF16_NS_16tensor_operation12element_wise11PassThroughES8_S8_LNS6_6device18GemmSpecializationE4ELi64ELi32ELi32ELi256ELi8ELi8ELi16ELi16ELi2ELi2ENS_8SequenceIJLi32ELi2ELi1EEEENSB_IJLi1ELi0ELi2EEEESD_Li2ELi8ELi8ELb0ELi0ESC_SD_SD_Li2ELi8ELi8ELb0ELi0ELi1ELi1ENSB_IJLi1ELi16ELi1ELi4EEEELi4ELNS_26BlockGemmPipelineSchedulerE1ELNS_24BlockGemmPipelineVersionE1EDF16_DF16_Lb0ELb0ELb0ELi0ELb0EEELb1ELNS_25InMemoryDataOperationEnumE0ELi2ELNS_10TailNumberE2EEEvNT_8ArgumentE
	.globl	_ZN2ck27kernel_gemm_xdl_cshuffle_v3INS_28GridwiseGemm_xdl_cshuffle_v3INS_13tensor_layout4gemm8RowMajorENS3_11ColumnMajorES4_DF16_DF16_fDF16_DF16_NS_16tensor_operation12element_wise11PassThroughES8_S8_LNS6_6device18GemmSpecializationE4ELi64ELi32ELi32ELi256ELi8ELi8ELi16ELi16ELi2ELi2ENS_8SequenceIJLi32ELi2ELi1EEEENSB_IJLi1ELi0ELi2EEEESD_Li2ELi8ELi8ELb0ELi0ESC_SD_SD_Li2ELi8ELi8ELb0ELi0ELi1ELi1ENSB_IJLi1ELi16ELi1ELi4EEEELi4ELNS_26BlockGemmPipelineSchedulerE1ELNS_24BlockGemmPipelineVersionE1EDF16_DF16_Lb0ELb0ELb0ELi0ELb0EEELb1ELNS_25InMemoryDataOperationEnumE0ELi2ELNS_10TailNumberE2EEEvNT_8ArgumentE
	.p2align	8
	.type	_ZN2ck27kernel_gemm_xdl_cshuffle_v3INS_28GridwiseGemm_xdl_cshuffle_v3INS_13tensor_layout4gemm8RowMajorENS3_11ColumnMajorES4_DF16_DF16_fDF16_DF16_NS_16tensor_operation12element_wise11PassThroughES8_S8_LNS6_6device18GemmSpecializationE4ELi64ELi32ELi32ELi256ELi8ELi8ELi16ELi16ELi2ELi2ENS_8SequenceIJLi32ELi2ELi1EEEENSB_IJLi1ELi0ELi2EEEESD_Li2ELi8ELi8ELb0ELi0ESC_SD_SD_Li2ELi8ELi8ELb0ELi0ELi1ELi1ENSB_IJLi1ELi16ELi1ELi4EEEELi4ELNS_26BlockGemmPipelineSchedulerE1ELNS_24BlockGemmPipelineVersionE1EDF16_DF16_Lb0ELb0ELb0ELi0ELb0EEELb1ELNS_25InMemoryDataOperationEnumE0ELi2ELNS_10TailNumberE2EEEvNT_8ArgumentE,@function
_ZN2ck27kernel_gemm_xdl_cshuffle_v3INS_28GridwiseGemm_xdl_cshuffle_v3INS_13tensor_layout4gemm8RowMajorENS3_11ColumnMajorES4_DF16_DF16_fDF16_DF16_NS_16tensor_operation12element_wise11PassThroughES8_S8_LNS6_6device18GemmSpecializationE4ELi64ELi32ELi32ELi256ELi8ELi8ELi16ELi16ELi2ELi2ENS_8SequenceIJLi32ELi2ELi1EEEENSB_IJLi1ELi0ELi2EEEESD_Li2ELi8ELi8ELb0ELi0ESC_SD_SD_Li2ELi8ELi8ELb0ELi0ELi1ELi1ENSB_IJLi1ELi16ELi1ELi4EEEELi4ELNS_26BlockGemmPipelineSchedulerE1ELNS_24BlockGemmPipelineVersionE1EDF16_DF16_Lb0ELb0ELb0ELi0ELb0EEELb1ELNS_25InMemoryDataOperationEnumE0ELi2ELNS_10TailNumberE2EEEvNT_8ArgumentE: ; @_ZN2ck27kernel_gemm_xdl_cshuffle_v3INS_28GridwiseGemm_xdl_cshuffle_v3INS_13tensor_layout4gemm8RowMajorENS3_11ColumnMajorES4_DF16_DF16_fDF16_DF16_NS_16tensor_operation12element_wise11PassThroughES8_S8_LNS6_6device18GemmSpecializationE4ELi64ELi32ELi32ELi256ELi8ELi8ELi16ELi16ELi2ELi2ENS_8SequenceIJLi32ELi2ELi1EEEENSB_IJLi1ELi0ELi2EEEESD_Li2ELi8ELi8ELb0ELi0ESC_SD_SD_Li2ELi8ELi8ELb0ELi0ELi1ELi1ENSB_IJLi1ELi16ELi1ELi4EEEELi4ELNS_26BlockGemmPipelineSchedulerE1ELNS_24BlockGemmPipelineVersionE1EDF16_DF16_Lb0ELb0ELb0ELi0ELb0EEELb1ELNS_25InMemoryDataOperationEnumE0ELi2ELNS_10TailNumberE2EEEvNT_8ArgumentE
; %bb.0:
	s_load_dwordx8 s[64:71], s[0:1], 0x10
	s_load_dwordx2 s[84:85], s[0:1], 0x60
	s_load_dword s9, s[0:1], 0x68
	s_load_dword s8, s[0:1], 0x3c
	s_load_dwordx4 s[4:7], s[0:1], 0x50
	s_waitcnt lgkmcnt(0)
	s_cmp_gt_i32 s70, 1
	s_cselect_b64 s[10:11], -1, 0
	s_bitcmp1_b32 s9, 0
	s_cselect_b64 s[12:13], -1, 0
	s_and_b64 s[10:11], s[10:11], s[12:13]
	v_mov_b32_e32 v164, v0
	s_andn2_b64 vcc, exec, s[10:11]
	s_mov_b64 s[86:87], 0
	s_cbranch_vccnz .LBB3_2
; %bb.1:
	s_mul_i32 s9, s64, s3
	s_mul_i32 s86, s9, s65
	s_ashr_i32 s87, s86, 31
.LBB3_2:
	s_load_dword s9, s[0:1], 0x34
	s_add_i32 s33, s64, -1
	s_cmp_lt_u32 s33, 32
	s_mov_b32 s71, 0
	s_cbranch_scc1 .LBB3_6
; %bb.3:
	s_add_i32 s0, s65, -1
	s_cmp_lt_u32 s0, 32
	s_mov_b32 s0, 0
	s_cbranch_scc1 .LBB3_10
; %bb.4:
	s_add_i32 s0, s64, 31
	s_ashr_i32 s1, s0, 31
	s_lshr_b32 s1, s1, 27
	s_add_i32 s0, s0, s1
	s_ashr_i32 s11, s0, 5
	s_add_i32 s0, s65, 31
	s_ashr_i32 s1, s0, 31
	s_lshr_b32 s1, s1, 27
	s_add_i32 s0, s0, s1
	s_ashr_i32 s10, s0, 5
	s_mul_i32 s0, s10, s11
	s_add_i32 s1, s0, 7
	s_ashr_i32 s12, s1, 31
	s_lshr_b32 s12, s12, 29
	s_add_i32 s1, s1, s12
	s_ashr_i32 s12, s1, 3
	s_and_b32 s1, s1, -8
	s_sub_i32 s13, s0, s1
	s_ashr_i32 s0, s2, 31
	s_lshr_b32 s0, s0, 29
	s_add_i32 s15, s2, s0
	s_and_b32 s0, s15, -8
	s_add_i32 s13, s13, 8
	s_sub_i32 s14, s2, s0
	s_cmp_gt_i32 s14, s13
	s_cbranch_scc1 .LBB3_7
; %bb.5:
	s_mul_i32 s2, s12, s14
	s_ashr_i32 s0, s15, 3
	s_cbranch_execz .LBB3_8
	s_branch .LBB3_9
.LBB3_6:
	s_mov_b32 s88, 0
	s_branch .LBB3_11
.LBB3_7:
                                        ; implicit-def: $sgpr2
	s_ashr_i32 s0, s15, 3
.LBB3_8:
	s_add_i32 s1, s12, -1
	s_mul_i32 s1, s1, s14
	s_add_i32 s2, s13, s1
.LBB3_9:
	s_abs_i32 s1, s10
	v_cvt_f32_u32_e32 v0, s1
	s_sub_i32 s13, 0, s1
	s_add_i32 s0, s2, s0
	s_abs_i32 s12, s0
	v_rcp_iflag_f32_e32 v0, v0
	s_xor_b32 s2, s0, s10
	s_ashr_i32 s2, s2, 31
	v_mul_f32_e32 v0, 0x4f7ffffe, v0
	v_cvt_u32_f32_e32 v0, v0
	s_nop 0
	v_readfirstlane_b32 s14, v0
	s_mul_i32 s13, s13, s14
	s_mul_hi_u32 s13, s14, s13
	s_add_i32 s14, s14, s13
	s_mul_hi_u32 s13, s12, s14
	s_mul_i32 s14, s13, s1
	s_sub_i32 s12, s12, s14
	s_add_i32 s15, s13, 1
	s_sub_i32 s14, s12, s1
	s_cmp_ge_u32 s12, s1
	s_cselect_b32 s13, s15, s13
	s_cselect_b32 s12, s14, s12
	s_add_i32 s14, s13, 1
	s_cmp_ge_u32 s12, s1
	s_cselect_b32 s1, s14, s13
	s_xor_b32 s1, s1, s2
	s_lshr_b32 s12, s11, 30
	s_sub_i32 s1, s1, s2
	s_add_i32 s12, s11, s12
	s_mul_i32 s2, s1, s10
	s_sub_i32 s0, s0, s2
	s_and_b32 s2, s12, -4
	s_sub_i32 s11, s11, s2
	s_cmp_ge_i32 s1, s2
	s_cselect_b32 s2, s11, 4
	s_abs_i32 s12, s2
	v_cvt_f32_u32_e32 v0, s12
	s_ashr_i32 s11, s1, 31
	s_lshr_b32 s11, s11, 30
	s_add_i32 s11, s1, s11
	v_rcp_iflag_f32_e32 v0, v0
	s_and_b32 s11, s11, -4
	s_sub_i32 s11, s1, s11
	s_sub_i32 s14, 0, s12
	v_mul_f32_e32 v0, 0x4f7ffffe, v0
	v_cvt_u32_f32_e32 v0, v0
	s_mul_i32 s10, s11, s10
	s_add_i32 s10, s10, s0
	s_abs_i32 s13, s10
	v_readfirstlane_b32 s15, v0
	s_mul_i32 s14, s14, s15
	s_mul_hi_u32 s14, s15, s14
	s_add_i32 s15, s15, s14
	s_mul_hi_u32 s14, s13, s15
	s_mul_i32 s15, s14, s12
	s_xor_b32 s0, s10, s2
	s_sub_i32 s13, s13, s15
	s_ashr_i32 s0, s0, 31
	s_add_i32 s15, s14, 1
	s_sub_i32 s16, s13, s12
	s_cmp_ge_u32 s13, s12
	s_cselect_b32 s14, s15, s14
	s_cselect_b32 s13, s16, s13
	s_add_i32 s15, s14, 1
	s_cmp_ge_u32 s13, s12
	s_cselect_b32 s12, s15, s14
	s_xor_b32 s12, s12, s0
	s_sub_i32 s0, s12, s0
	s_mul_i32 s2, s0, s2
	s_sub_i32 s2, s10, s2
	s_add_i32 s2, s2, s1
	s_sub_i32 s2, s2, s11
.LBB3_10:
	s_mov_b32 s88, s2
	s_mov_b32 s2, s0
.LBB3_11:
	s_waitcnt lgkmcnt(0)
	s_mul_i32 s0, s9, s3
	s_ashr_i32 s1, s0, 31
	s_lshl_b64 s[0:1], s[0:1], 1
	s_add_u32 s72, s4, s0
	s_addc_u32 s4, s5, s1
	s_add_u32 s80, s6, s0
	s_addc_u32 s5, s7, s1
	s_add_i32 s0, s65, 0x7fffffff
	s_mul_i32 s7, s0, s68
	s_add_i32 s0, s70, -1
	s_mul_i32 s1, s0, s9
	s_sub_i32 s1, s66, s1
	v_lshrrev_b32_e32 v130, 1, v164
	s_cmp_lt_u32 s3, s0
	v_and_b32_e32 v183, 31, v164
	v_and_b32_e32 v185, 16, v130
	s_cselect_b32 s3, s9, s1
	s_lshl_b32 s66, s2, 5
	v_lshl_or_b32 v131, s88, 5, v185
	v_lshlrev_b32_e32 v0, 3, v183
	v_mad_u64_u32 v[2:3], s[0:1], v131, s67, v[0:1]
	v_bitop3_b32 v187, v130, v183, 16 bitop3:0x6c
	v_lshlrev_b32_e32 v1, 8, v185
	v_or_b32_e32 v133, s66, v185
	v_lshl_or_b32 v132, v187, 3, v1
	v_mad_u64_u32 v[0:1], s[0:1], v133, s68, v[0:1]
	s_ashr_i32 s0, s8, 31
	s_mul_i32 s6, s33, s67
	v_lshlrev_b32_e32 v1, 2, v164
	s_lshr_b32 s0, s0, 27
	scratch_store_dword off, v1, off offset:484 ; 4-byte Folded Spill
	v_and_b32_e32 v1, 0xc0, v1
	s_add_i32 s8, s8, s0
	s_add_i32 s0, s3, s6
	scratch_store_dword off, v1, off offset:480 ; 4-byte Folded Spill
	v_lshrrev_b32_e32 v179, 3, v1
	s_lshl_b32 s74, s0, 1
	s_and_b32 s73, s4, 0xffff
	s_mov_b32 s75, 0x20000
	v_lshlrev_b32_e32 v1, 1, v2
	v_add_u32_e32 v2, s67, v2
	v_lshlrev_b32_e32 v3, 1, v2
	buffer_load_dwordx4 v[66:69], v1, s[72:75], 0 offen
	buffer_load_dwordx4 v[70:73], v3, s[72:75], 0 offen
	v_add_u32_e32 v2, s67, v2
	v_lshlrev_b32_e32 v3, 1, v2
	v_add_u32_e32 v2, s67, v2
	v_lshlrev_b32_e32 v4, 1, v2
	v_add_u32_e32 v2, s67, v2
	buffer_load_dwordx4 v[74:77], v3, s[72:75], 0 offen
	buffer_load_dwordx4 v[78:81], v4, s[72:75], 0 offen
	v_lshlrev_b32_e32 v3, 1, v2
	v_add_u32_e32 v2, s67, v2
	v_lshlrev_b32_e32 v4, 1, v2
	buffer_load_dwordx4 v[82:85], v3, s[72:75], 0 offen
	buffer_load_dwordx4 v[86:89], v4, s[72:75], 0 offen
	v_add_u32_e32 v2, s67, v2
	v_lshlrev_b32_e32 v3, 1, v2
	v_add_u32_e32 v2, s67, v2
	v_lshlrev_b32_e32 v4, 1, v2
	v_add_u32_e32 v2, s67, v2
	buffer_load_dwordx4 v[90:93], v3, s[72:75], 0 offen
	buffer_load_dwordx4 v[94:97], v4, s[72:75], 0 offen
	v_lshlrev_b32_e32 v3, 1, v2
	v_add_u32_e32 v2, s67, v2
	v_lshlrev_b32_e32 v4, 1, v2
	v_add_u32_e32 v2, s67, v2
	buffer_load_dwordx4 v[98:101], v3, s[72:75], 0 offen
	buffer_load_dwordx4 v[102:105], v4, s[72:75], 0 offen
	;; [unrolled: 6-line block ×3, first 2 shown]
	v_lshlrev_b32_e32 v3, 1, v2
	v_add_u32_e32 v2, s67, v2
	v_lshlrev_b32_e32 v4, 1, v2
	v_add_u32_e32 v2, s67, v2
	v_add_u32_e32 v148, s67, v2
	buffer_load_dwordx4 v[114:117], v3, s[72:75], 0 offen
	buffer_load_dwordx4 v[118:121], v4, s[72:75], 0 offen
	v_lshlrev_b32_e32 v3, 1, v2
	v_lshlrev_b32_e32 v2, 1, v148
	buffer_load_dwordx4 v[122:125], v3, s[72:75], 0 offen
	buffer_load_dwordx4 v[126:129], v2, s[72:75], 0 offen
	s_add_i32 s3, s3, s7
	v_lshlrev_b32_e32 v2, 1, v0
	v_add_u32_e32 v0, s68, v0
	s_lshl_b32 s82, s3, 1
	s_and_b32 s81, s5, 0xffff
	s_mov_b32 s83, s75
	v_lshlrev_b32_e32 v3, 1, v0
	v_add_u32_e32 v0, s68, v0
	buffer_load_dwordx4 v[62:65], v2, s[80:83], 0 offen
	buffer_load_dwordx4 v[54:57], v3, s[80:83], 0 offen
	v_lshlrev_b32_e32 v2, 1, v0
	v_add_u32_e32 v0, s68, v0
	v_lshlrev_b32_e32 v3, 1, v0
	v_add_u32_e32 v0, s68, v0
	buffer_load_dwordx4 v[58:61], v2, s[80:83], 0 offen
	buffer_load_dwordx4 v[46:49], v3, s[80:83], 0 offen
	v_lshlrev_b32_e32 v2, 1, v0
	v_add_u32_e32 v0, s68, v0
	;; [unrolled: 6-line block ×7, first 2 shown]
	v_lshlrev_b32_e32 v3, 1, v0
	buffer_load_dwordx4 v[10:13], v2, s[80:83], 0 offen
	s_nop 0
	buffer_load_dwordx4 v[2:5], v3, s[80:83], 0 offen
	v_or_b32_e32 v1, 2, v131
	v_cmp_gt_i32_e32 vcc, s64, v131
	v_cmp_gt_i32_e64 s[2:3], s64, v1
	v_lshlrev_b32_e32 v1, 1, v132
	s_waitcnt vmcnt(31)
	v_cndmask_b32_e32 v69, 0, v69, vcc
	v_cndmask_b32_e32 v68, 0, v68, vcc
	;; [unrolled: 1-line block ×4, first 2 shown]
	ds_write_b128 v1, v[66:69]
	v_bitop3_b32 v66, v185, v183, 1 bitop3:0x36
	v_bitop3_b32 v68, v185, v183, 2 bitop3:0x36
	v_sub_u32_e32 v67, v66, v187
	v_sub_u32_e32 v66, v68, v66
	v_or_b32_e32 v134, 1, v131
	v_lshlrev_b32_e32 v69, 3, v66
	v_cmp_gt_i32_e64 s[0:1], s64, v134
	scratch_store_dword off, v69, off offset:352 ; 4-byte Folded Spill
	v_add_u32_e32 v134, 0x100, v69
	v_bitop3_b32 v69, v185, v183, 3 bitop3:0x36
	v_or_b32_e32 v135, 3, v131
	v_or_b32_e32 v136, 4, v131
	;; [unrolled: 1-line block ×13, first 2 shown]
	s_waitcnt vmcnt(31)
	v_cndmask_b32_e64 v73, 0, v73, s[0:1]
	v_cndmask_b32_e64 v72, 0, v72, s[0:1]
	;; [unrolled: 1-line block ×4, first 2 shown]
	v_lshlrev_b32_e32 v131, 3, v67
	v_lshl_add_u32 v67, v67, 4, v1
	v_sub_u32_e32 v68, v69, v68
	ds_write_b128 v67, v[70:73] offset:512
	v_lshlrev_b32_e32 v70, 3, v68
	v_cmp_gt_i32_e64 s[4:5], s64, v135
	scratch_store_dword off, v70, off offset:360 ; 4-byte Folded Spill
	v_add_u32_e32 v135, 0x100, v70
	v_bitop3_b32 v70, v185, v183, 4 bitop3:0x36
	v_sub_u32_e32 v69, v70, v69
	v_lshlrev_b32_e32 v66, 4, v66
	s_movk_i32 s92, 0x200
	v_lshlrev_b32_e32 v71, 3, v69
	v_cmp_gt_i32_e64 s[6:7], s64, v136
	v_add3_u32 v66, v67, s92, v66
	v_lshlrev_b32_e32 v68, 4, v68
	scratch_store_dword off, v71, off offset:368 ; 4-byte Folded Spill
	v_add_u32_e32 v136, 0x100, v71
	v_bitop3_b32 v71, v185, v183, 5 bitop3:0x36
	v_add3_u32 v68, v66, s92, v68
	v_lshlrev_b32_e32 v69, 4, v69
	v_sub_u32_e32 v70, v71, v70
	s_waitcnt vmcnt(32)
	v_cndmask_b32_e64 v77, 0, v77, s[2:3]
	v_cndmask_b32_e64 v76, 0, v76, s[2:3]
	v_cndmask_b32_e64 v75, 0, v75, s[2:3]
	v_cndmask_b32_e64 v74, 0, v74, s[2:3]
	s_waitcnt vmcnt(31)
	v_cndmask_b32_e64 v81, 0, v81, s[4:5]
	v_cndmask_b32_e64 v80, 0, v80, s[4:5]
	v_cndmask_b32_e64 v79, 0, v79, s[4:5]
	v_cndmask_b32_e64 v78, 0, v78, s[4:5]
	;; [unrolled: 5-line block ×3, first 2 shown]
	v_add3_u32 v69, v68, s92, v69
	v_lshlrev_b32_e32 v72, 3, v70
	ds_write_b128 v66, v[74:77] offset:512
	ds_write_b128 v68, v[78:81] offset:512
	;; [unrolled: 1-line block ×3, first 2 shown]
	scratch_store_dword off, v72, off offset:376 ; 4-byte Folded Spill
	v_add_u32_e32 v84, 0x100, v72
	v_bitop3_b32 v72, v185, v183, 6 bitop3:0x36
	v_sub_u32_e32 v71, v72, v71
	v_lshlrev_b32_e32 v73, 3, v71
	scratch_store_dword off, v73, off offset:384 ; 4-byte Folded Spill
	v_add_u32_e32 v85, 0x100, v73
	v_bitop3_b32 v73, v185, v183, 7 bitop3:0x36
	s_ashr_i32 s93, s8, 5
	v_cmp_gt_i32_e64 s[8:9], s64, v137
	v_lshlrev_b32_e32 v70, 4, v70
	v_sub_u32_e32 v72, v73, v72
	s_waitcnt vmcnt(31)
	v_cndmask_b32_e64 v89, 0, v89, s[8:9]
	v_cndmask_b32_e64 v88, 0, v88, s[8:9]
	;; [unrolled: 1-line block ×4, first 2 shown]
	v_add3_u32 v70, v69, s92, v70
	v_lshlrev_b32_e32 v74, 3, v72
	ds_write_b128 v70, v[86:89] offset:512
	scratch_store_dword off, v74, off offset:392 ; 4-byte Folded Spill
	v_add_u32_e32 v86, 0x100, v74
	v_bitop3_b32 v74, v185, v183, 8 bitop3:0x36
	v_sub_u32_e32 v73, v74, v73
	v_lshlrev_b32_e32 v75, 3, v73
	scratch_store_dword off, v75, off offset:400 ; 4-byte Folded Spill
	v_add_u32_e32 v87, 0x100, v75
	v_bitop3_b32 v75, v185, v183, 9 bitop3:0x36
	v_sub_u32_e32 v74, v75, v74
	v_lshlrev_b32_e32 v76, 3, v74
	;; [unrolled: 5-line block ×3, first 2 shown]
	scratch_store_dword off, v77, off offset:416 ; 4-byte Folded Spill
	v_add_u32_e32 v89, 0x100, v77
	v_bitop3_b32 v77, v185, v183, 11 bitop3:0x36
	v_cmp_gt_i32_e64 s[10:11], s64, v138
	v_lshlrev_b32_e32 v71, 4, v71
	v_sub_u32_e32 v76, v77, v76
	s_waitcnt vmcnt(34)
	v_cndmask_b32_e64 v93, 0, v93, s[10:11]
	v_cndmask_b32_e64 v92, 0, v92, s[10:11]
	v_cndmask_b32_e64 v91, 0, v91, s[10:11]
	v_cndmask_b32_e64 v90, 0, v90, s[10:11]
	v_add3_u32 v71, v70, s92, v71
	v_lshlrev_b32_e32 v78, 3, v76
	ds_write_b128 v71, v[90:93] offset:512
	scratch_store_dword off, v78, off offset:424 ; 4-byte Folded Spill
	v_add_u32_e32 v90, 0x100, v78
	v_bitop3_b32 v78, v185, v183, 12 bitop3:0x36
	v_sub_u32_e32 v77, v78, v77
	v_lshlrev_b32_e32 v79, 3, v77
	scratch_store_dword off, v79, off offset:432 ; 4-byte Folded Spill
	v_add_u32_e32 v91, 0x100, v79
	v_bitop3_b32 v79, v185, v183, 13 bitop3:0x36
	v_cmp_gt_i32_e64 s[28:29], s64, v147
	v_lshlrev_b32_e32 v72, 4, v72
	v_sub_u32_e32 v78, v79, v78
	v_bitop3_b32 v147, v185, v183, 14 bitop3:0x36
	v_add_u32_e32 v83, v131, v134
	v_add3_u32 v72, v71, s92, v72
	v_lshlrev_b32_e32 v73, 4, v73
	v_lshlrev_b32_e32 v80, 3, v78
	v_sub_u32_e32 v79, v147, v79
	v_add3_u32 v83, v83, v135, v136
	v_add3_u32 v73, v72, s92, v73
	v_lshlrev_b32_e32 v74, 4, v74
	scratch_store_dword off, v80, off offset:440 ; 4-byte Folded Spill
	v_add_u32_e32 v92, 0x100, v80
	v_lshlrev_b32_e32 v80, 3, v79
	v_add3_u32 v83, v83, v84, v85
	v_add3_u32 v74, v73, s92, v74
	v_lshlrev_b32_e32 v75, 4, v75
	scratch_store_dword off, v80, off offset:448 ; 4-byte Folded Spill
	v_add_u32_e32 v93, 0x100, v80
	v_or_b32_e32 v80, 15, v130
	v_add3_u32 v83, v83, v86, v87
	v_add3_u32 v75, v74, s92, v75
	v_lshlrev_b32_e32 v76, 4, v76
	v_bitop3_b32 v80, v80, 31, v164 bitop3:0x48
	v_add3_u32 v83, v83, v88, v89
	v_add3_u32 v76, v75, s92, v76
	v_lshlrev_b32_e32 v77, 4, v77
	v_sub_u32_e32 v81, v80, v147
	v_add3_u32 v83, v83, v90, v91
	v_and_b32_e32 v165, 15, v164
	v_bitop3_b32 v180, v164, v179, 15 bitop3:0x6c
	v_add3_u32 v77, v76, s92, v77
	v_lshlrev_b32_e32 v78, 4, v78
	scratch_store_dword off, v164, off offset:472 ; 4-byte Folded Spill
	v_lshlrev_b32_e32 v82, 3, v81
	v_add3_u32 v164, v83, v92, v93
	v_sub_u32_e32 v80, v187, v80
	v_or_b32_e32 v163, 15, v133
	s_mul_i32 s70, s67, -15
	v_add3_u32 v78, v77, s92, v78
	v_add3_u32 v82, v164, v132, v82
	v_lshlrev_b32_e32 v79, 4, v79
	v_lshlrev_b32_e32 v80, 3, v80
	s_movk_i32 s30, 0xf300
	v_or_b32_e32 v149, 1, v133
	v_or_b32_e32 v150, 2, v133
	;; [unrolled: 1-line block ×14, first 2 shown]
	s_addk_i32 s70, 0x100
	v_cmp_gt_i32_e64 s[12:13], s64, v139
	v_cmp_gt_i32_e64 s[14:15], s64, v140
	;; [unrolled: 1-line block ×8, first 2 shown]
	v_add3_u32 v79, v78, s92, v79
	v_lshlrev_b32_e32 v81, 4, v81
	v_add3_u32 v80, v82, v80, s30
	v_cmp_gt_i32_e64 s[30:31], s65, v133
	v_cmp_gt_i32_e64 s[62:63], s65, v163
	v_add_u32_e32 v148, s70, v148
	s_waitcnt vmcnt(38)
	v_cndmask_b32_e64 v97, 0, v97, s[12:13]
	v_cndmask_b32_e64 v96, 0, v96, s[12:13]
	v_cndmask_b32_e64 v95, 0, v95, s[12:13]
	v_cndmask_b32_e64 v94, 0, v94, s[12:13]
	s_waitcnt vmcnt(37)
	v_cndmask_b32_e64 v101, 0, v101, s[14:15]
	v_cndmask_b32_e64 v100, 0, v100, s[14:15]
	v_cndmask_b32_e64 v99, 0, v99, s[14:15]
	v_cndmask_b32_e64 v98, 0, v98, s[14:15]
	;; [unrolled: 5-line block ×9, first 2 shown]
	v_add3_u32 v81, v79, s92, v81
	s_waitcnt vmcnt(29)
	v_cndmask_b32_e64 v65, 0, v65, s[30:31]
	v_cndmask_b32_e64 v64, 0, v64, s[30:31]
	;; [unrolled: 1-line block ×4, first 2 shown]
	v_cmp_gt_i32_e64 s[34:35], s65, v149
	v_cmp_gt_i32_e64 s[36:37], s65, v150
	;; [unrolled: 1-line block ×14, first 2 shown]
	s_waitcnt vmcnt(14)
	v_cndmask_b32_e64 v2, 0, v2, s[62:63]
	ds_write_b128 v72, v[94:97] offset:512
	ds_write_b128 v73, v[98:101] offset:512
	;; [unrolled: 1-line block ×7, first 2 shown]
	scratch_store_dword off, v131, off offset:348 ; 4-byte Folded Spill
	scratch_store_dword off, v134, off offset:356 ; 4-byte Folded Spill
	;; [unrolled: 1-line block ×14, first 2 shown]
	ds_write_b128 v79, v[122:125] offset:512
	ds_write_b128 v81, v[126:129] offset:512
	scratch_store_dword off, v80, off offset:48 ; 4-byte Folded Spill
	v_cndmask_b32_e64 v57, 0, v57, s[34:35]
	v_cndmask_b32_e64 v56, 0, v56, s[34:35]
	;; [unrolled: 1-line block ×59, first 2 shown]
	ds_write_b128 v1, v[62:65] offset:16384
	ds_write_b128 v67, v[54:57] offset:16896
	;; [unrolled: 1-line block ×16, first 2 shown]
	v_lshlrev_b32_e32 v1, 1, v148
	v_add_u32_e32 v2, s67, v148
	s_mul_i32 s91, s68, -15
	v_lshlrev_b32_e32 v3, 1, v2
	buffer_load_dwordx4 v[50:53], v1, s[72:75], 0 offen
	buffer_load_dwordx4 v[46:49], v3, s[72:75], 0 offen
	v_add_u32_e32 v1, s67, v2
	s_addk_i32 s91, 0x100
	v_lshlrev_b32_e32 v2, 1, v1
	v_add_u32_e32 v1, s67, v1
	v_add_u32_e32 v0, s91, v0
	v_lshlrev_b32_e32 v3, 1, v1
	buffer_load_dwordx4 v[86:89], v2, s[72:75], 0 offen
	buffer_load_dwordx4 v[82:85], v3, s[72:75], 0 offen
	v_lshlrev_b32_e32 v3, 1, v0
	v_add_u32_e32 v0, s68, v0
	v_lshlrev_b32_e32 v4, 1, v0
	v_add_u32_e32 v0, s68, v0
	v_add_u32_e32 v1, s67, v1
	buffer_load_dwordx4 v[22:25], v3, s[80:83], 0 offen
	buffer_load_dwordx4 v[18:21], v4, s[80:83], 0 offen
	v_lshlrev_b32_e32 v3, 1, v0
	v_add_u32_e32 v0, s68, v0
	v_lshlrev_b32_e32 v2, 1, v1
	v_lshlrev_b32_e32 v4, 1, v0
	v_add_u32_e32 v1, s67, v1
	buffer_load_dwordx4 v[66:69], v3, s[80:83], 0 offen
	buffer_load_dwordx4 v[26:29], v4, s[80:83], 0 offen
	v_lshlrev_b32_e32 v4, 1, v1
	v_add_u32_e32 v1, s67, v1
	buffer_load_dwordx4 v[90:93], v2, s[72:75], 0 offen
	buffer_load_dwordx4 v[94:97], v4, s[72:75], 0 offen
	v_lshlrev_b32_e32 v4, 1, v1
	v_add_u32_e32 v1, s67, v1
	v_lshlrev_b32_e32 v6, 1, v1
	v_add_u32_e32 v1, s67, v1
	buffer_load_dwordx4 v[98:101], v4, s[72:75], 0 offen
	buffer_load_dwordx4 v[102:105], v6, s[72:75], 0 offen
	v_lshlrev_b32_e32 v6, 1, v1
	v_add_u32_e32 v1, s67, v1
	v_add_u32_e32 v0, s68, v0
	v_lshlrev_b32_e32 v8, 1, v1
	v_add_u32_e32 v1, s67, v1
	v_lshlrev_b32_e32 v3, 1, v0
	v_add_u32_e32 v0, s68, v0
	buffer_load_dwordx4 v[106:109], v6, s[72:75], 0 offen
	buffer_load_dwordx4 v[110:113], v8, s[72:75], 0 offen
	v_lshlrev_b32_e32 v8, 1, v1
	v_add_u32_e32 v1, s67, v1
	v_add_u32_e32 v2, s68, v0
	v_lshlrev_b32_e32 v10, 1, v1
	v_add_u32_e32 v1, s67, v1
	v_add_u32_e32 v5, s68, v2
	buffer_load_dwordx4 v[114:117], v8, s[72:75], 0 offen
	buffer_load_dwordx4 v[118:121], v10, s[72:75], 0 offen
	v_lshlrev_b32_e32 v10, 1, v1
	v_add_u32_e32 v1, s67, v1
	v_add_u32_e32 v4, s68, v5
	v_lshlrev_b32_e32 v12, 1, v1
	v_add_u32_e32 v7, s68, v4
	buffer_load_dwordx4 v[122:125], v10, s[72:75], 0 offen
	buffer_load_dwordx4 v[126:129], v12, s[72:75], 0 offen
	v_add_u32_e32 v12, s67, v1
	v_add_u32_e32 v6, s68, v7
	v_lshlrev_b32_e32 v13, 1, v12
	v_add_u32_e32 v146, s67, v12
	v_lshlrev_b32_e32 v0, 1, v0
	;; [unrolled: 2-line block ×3, first 2 shown]
	buffer_load_dwordx4 v[34:37], v13, s[72:75], 0 offen
	buffer_load_dwordx4 v[78:81], v12, s[72:75], 0 offen
	;; [unrolled: 1-line block ×4, first 2 shown]
	v_lshlrev_b32_e32 v0, 1, v2
	v_add_u32_e32 v8, s68, v9
	v_lshlrev_b32_e32 v2, 1, v5
	buffer_load_dwordx4 v[38:41], v0, s[80:83], 0 offen
	buffer_load_dwordx4 v[74:77], v2, s[80:83], 0 offen
	v_lshlrev_b32_e32 v0, 1, v4
	v_add_u32_e32 v11, s68, v8
	v_lshlrev_b32_e32 v2, 1, v7
	buffer_load_dwordx4 v[30:33], v0, s[80:83], 0 offen
	buffer_load_dwordx4 v[142:145], v2, s[80:83], 0 offen
	;; [unrolled: 5-line block ×4, first 2 shown]
	v_lshlrev_b32_e32 v0, 1, v10
	v_lshlrev_b32_e32 v2, 1, v1
	buffer_load_dwordx4 v[62:65], v0, s[80:83], 0 offen
	buffer_load_dwordx4 v[54:57], v2, s[80:83], 0 offen
	v_lshlrev_b32_e32 v0, 9, v165
	v_lshl_or_b32 v16, v180, 4, v0
	v_bitop3_b32 v0, v179, v165, 1 bitop3:0x36
	v_sub_u32_e32 v0, v0, v180
	v_bitop3_b32 v2, v179, v165, 2 bitop3:0x36
	v_lshlrev_b32_e32 v0, 4, v0
	v_sub_u32_e32 v2, v2, v180
	v_bitop3_b32 v3, v179, v165, 3 bitop3:0x36
	v_lshlrev_b32_e32 v2, 4, v2
	v_sub_u32_e32 v3, v3, v180
	v_bitop3_b32 v4, v179, v165, 4 bitop3:0x36
	v_add_u32_e32 v0, v16, v0
	v_lshlrev_b32_e32 v3, 4, v3
	v_sub_u32_e32 v4, v4, v180
	v_bitop3_b32 v5, v179, v165, 5 bitop3:0x36
	scratch_store_dword off, v0, off offset:24 ; 4-byte Folded Spill
	v_add_u32_e32 v0, v16, v2
	v_lshlrev_b32_e32 v4, 4, v4
	v_sub_u32_e32 v5, v5, v180
	v_bitop3_b32 v6, v179, v165, 6 bitop3:0x36
	scratch_store_dword off, v0, off offset:344 ; 4-byte Folded Spill
	;; [unrolled: 5-line block ×3, first 2 shown]
	v_add_u32_e32 v0, v16, v4
	v_lshlrev_b32_e32 v6, 4, v6
	v_sub_u32_e32 v7, v7, v180
	scratch_store_dword off, v0, off offset:340 ; 4-byte Folded Spill
	v_add_u32_e32 v0, v16, v5
	v_lshlrev_b32_e32 v7, 4, v7
	scratch_store_dword off, v0, off offset:336 ; 4-byte Folded Spill
	v_add_u32_e32 v0, v16, v6
	scratch_store_dword off, v0, off offset:4 ; 4-byte Folded Spill
	v_add_u32_e32 v0, v16, v7
	scratch_store_dword off, v0, off        ; 4-byte Folded Spill
	v_bitop3_b32 v0, v185, v183, 15 bitop3:0x36
	v_sub_u32_e32 v2, v0, v147
	v_lshlrev_b32_e32 v2, 3, v2
	scratch_store_dword off, v2, off offset:456 ; 4-byte Folded Spill
	v_add_u32_e32 v3, 0x100, v2
	v_sub_u32_e32 v0, v187, v0
	v_mov_b32_e32 v2, 0xfffff100
	s_movk_i32 s94, 0x100
	v_bitop3_b32 v8, v179, v165, 16 bitop3:0x1e
	v_or_b32_e32 v9, 16, v165
	v_lshl_add_u32 v2, v0, 3, v2
	v_add_u32_e32 v0, v164, v3
	v_sub_u32_e32 v8, v8, v180
	v_bitop3_b32 v10, v179, v9, 1 bitop3:0x36
	v_add3_u32 v0, v0, v2, s94
	v_lshlrev_b32_e32 v8, 4, v8
	v_sub_u32_e32 v10, v10, v180
	v_bitop3_b32 v11, v179, v9, 2 bitop3:0x36
	v_add_u32_e32 v0, v0, v0
	v_lshlrev_b32_e32 v10, 4, v10
	v_sub_u32_e32 v11, v11, v180
	v_bitop3_b32 v12, v179, v9, 3 bitop3:0x36
	scratch_store_dword off, v0, off offset:468 ; 4-byte Folded Spill
	v_add_u32_e32 v0, v16, v8
	v_lshlrev_b32_e32 v11, 4, v11
	v_sub_u32_e32 v12, v12, v180
	v_bitop3_b32 v13, v179, v9, 4 bitop3:0x36
	scratch_store_dword off, v0, off offset:44 ; 4-byte Folded Spill
	;; [unrolled: 5-line block ×5, first 2 shown]
	v_add_u32_e32 v0, v16, v13
	v_lshlrev_b32_e32 v15, 4, v15
	v_sub_u32_e32 v9, v9, v180
	scratch_store_dword off, v0, off offset:28 ; 4-byte Folded Spill
	v_add_u32_e32 v0, v16, v14
	v_lshlrev_b32_e32 v9, 4, v9
	v_mov_b32_e32 v148, 0
	scratch_store_dword off, v0, off offset:20 ; 4-byte Folded Spill
	v_add_u32_e32 v0, v16, v15
	s_mov_b32 s89, s67
	s_mov_b32 s90, s68
	;; [unrolled: 1-line block ×6, first 2 shown]
	s_add_i32 s80, s93, -2
	scratch_store_dword off, v165, off offset:476 ; 4-byte Folded Spill
	scratch_store_dword off, v3, off offset:460 ; 4-byte Folded Spill
	scratch_store_dword off, v2, off offset:464 ; 4-byte Folded Spill
	scratch_store_dword off, v0, off offset:16 ; 4-byte Folded Spill
	scratch_store_dword off, v16, off offset:332 ; 4-byte Folded Spill
	v_add_u32_e32 v0, v16, v9
	v_mov_b32_e32 v149, v148
	v_mov_b32_e32 v150, v148
	;; [unrolled: 1-line block ×15, first 2 shown]
	scratch_store_dword off, v0, off offset:8 ; 4-byte Folded Spill
.LBB3_12:                               ; =>This Inner Loop Header: Depth=1
	s_waitcnt vmcnt(9)
	scratch_store_dwordx4 off, v[38:41], off offset:280 ; 16-byte Folded Spill
	s_waitcnt vmcnt(5)
	scratch_store_dwordx4 off, v[58:61], off offset:260 ; 16-byte Folded Spill
	scratch_store_dwordx4 off, v[74:77], off offset:244 ; 16-byte Folded Spill
	s_waitcnt vmcnt(6)
	scratch_store_dwordx4 off, v[134:137], off offset:228 ; 16-byte Folded Spill
	s_waitcnt vmcnt(6)
	;; [unrolled: 2-line block ×4, first 2 shown]
	scratch_store_dwordx4 off, v[54:57], off offset:52 ; 16-byte Folded Spill
	v_add_u32_e32 v192, s91, v1
	s_waitcnt lgkmcnt(0)
	; wave barrier
	scratch_load_dword v179, off, off offset:332 ; 4-byte Folded Reload
	scratch_load_dword v178, off, off offset:344 ; 4-byte Folded Reload
	;; [unrolled: 1-line block ×15, first 2 shown]
	scratch_load_dword v7, off, off         ; 4-byte Folded Reload
	v_mov_b64_e32 v[132:133], v[44:45]
	v_mov_b64_e32 v[76:77], v[32:33]
	;; [unrolled: 1-line block ×8, first 2 shown]
	v_add_u32_e32 v209, s70, v146
	v_mov_b64_e32 v[44:45], v[150:151]
	v_mov_b64_e32 v[136:137], v[154:155]
	;; [unrolled: 1-line block ×10, first 2 shown]
	s_waitcnt vmcnt(15)
	ds_read_b128 v[200:203], v179
	s_waitcnt vmcnt(14)
	ds_read_b128 v[210:213], v178
	;; [unrolled: 2-line block ×4, first 2 shown]
	s_waitcnt vmcnt(11)
	ds_read_b128 v[234:237], v6 offset:8192
	s_waitcnt vmcnt(10)
	ds_read_b128 v[238:241], v3 offset:8192
	;; [unrolled: 2-line block ×4, first 2 shown]
	s_waitcnt vmcnt(7)
	ds_read_b128 v[204:207], v10
	s_waitcnt vmcnt(6)
	ds_read_b128 v[214:217], v9
	;; [unrolled: 2-line block ×3, first 2 shown]
	s_waitcnt vmcnt(4)
	ds_read_b128 v[250:253], v4 offset:8192
	s_waitcnt vmcnt(3)
	ds_read_b128 v[146:149], v5 offset:8192
	;; [unrolled: 2-line block ×4, first 2 shown]
	s_waitcnt vmcnt(0)
	ds_read_b128 v[230:233], v7
	ds_read_b128 v[158:161], v179 offset:16384
	ds_read_b128 v[162:165], v10 offset:16384
	;; [unrolled: 1-line block ×16, first 2 shown]
	; sched_barrier mask(0x00000000)
	; wave barrier
	; sched_barrier mask(0x00000000)
	s_waitcnt lgkmcnt(14)
	v_mfma_f32_16x16x32_f16 v[30:33], v[200:203], v[158:161], v[30:33]
	; sched_barrier mask(0x00000000)
	s_setprio 1
	; sched_barrier mask(0x00000000)
	s_waitcnt lgkmcnt(7)
	v_mfma_f32_16x16x32_f16 v[200:203], v[200:203], v[174:177], v[38:41]
	v_mfma_f32_16x16x32_f16 v[174:177], v[234:237], v[174:177], v[42:45]
	v_mfma_f32_16x16x32_f16 v[30:33], v[204:207], v[162:165], v[30:33]
	v_mfma_f32_16x16x32_f16 v[158:161], v[234:237], v[158:161], v[134:137]
	s_waitcnt lgkmcnt(6)
	v_mfma_f32_16x16x32_f16 v[200:203], v[204:207], v[6:9], v[200:203]
	v_mfma_f32_16x16x32_f16 v[4:7], v[238:241], v[6:9], v[174:177]
	v_mfma_f32_16x16x32_f16 v[30:33], v[210:213], v[166:169], v[30:33]
	v_mfma_f32_16x16x32_f16 v[158:161], v[238:241], v[162:165], v[158:161]
	;; [unrolled: 5-line block ×7, first 2 shown]
	s_nop 6
	scratch_store_dwordx4 off, v[0:3], off offset:176 ; 16-byte Folded Spill
	s_waitcnt lgkmcnt(0)
	s_nop 0
	v_mfma_f32_16x16x32_f16 v[0:3], v[230:233], v[26:29], v[16:19]
	s_nop 7
	scratch_store_dwordx4 off, v[0:3], off offset:144 ; 16-byte Folded Spill
	s_nop 1
	v_mfma_f32_16x16x32_f16 v[0:3], v[154:157], v[188:191], v[30:33]
	s_nop 7
	scratch_store_dwordx4 off, v[0:3], off offset:160 ; 16-byte Folded Spill
	; sched_barrier mask(0x00000000)
	s_waitcnt lgkmcnt(0)
	; wave barrier
	; sched_barrier mask(0x00000000)
	s_nop 0
	v_mfma_f32_16x16x32_f16 v[0:3], v[154:157], v[26:29], v[20:23]
	s_nop 7
	scratch_store_dwordx4 off, v[0:3], off offset:192 ; 16-byte Folded Spill
	; sched_barrier mask(0x00000000)
	s_setprio 0
	; sched_barrier mask(0x00000000)
	scratch_load_dwordx4 v[6:9], off, off offset:280 ; 16-byte Folded Reload
	scratch_load_dword v40, off, off offset:48 ; 4-byte Folded Reload
	scratch_load_dword v1, off, off offset:348 ; 4-byte Folded Reload
	v_cndmask_b32_e32 v21, 0, v53, vcc
	v_cndmask_b32_e32 v20, 0, v52, vcc
	;; [unrolled: 1-line block ×4, first 2 shown]
	v_cndmask_b32_e64 v25, 0, v49, s[0:1]
	v_cndmask_b32_e64 v24, 0, v48, s[0:1]
	;; [unrolled: 1-line block ×73, first 2 shown]
	s_waitcnt vmcnt(2)
	v_cndmask_b32_e64 v159, 0, v9, s[44:45]
	v_cndmask_b32_e64 v158, 0, v8, s[44:45]
	v_cndmask_b32_e64 v157, 0, v7, s[44:45]
	v_cndmask_b32_e64 v156, 0, v6, s[44:45]
	scratch_load_dwordx4 v[6:9], off, off offset:244 ; 16-byte Folded Reload
	v_cndmask_b32_e64 v166, 0, v76, s[48:49]
	v_cndmask_b32_e64 v165, 0, v75, s[48:49]
	v_cndmask_b32_e64 v164, 0, v74, s[48:49]
	v_cndmask_b32_e64 v151, 0, v73, s[40:41]
	v_cndmask_b32_e64 v150, 0, v72, s[40:41]
	v_cndmask_b32_e64 v149, 0, v71, s[40:41]
	v_cndmask_b32_e64 v148, 0, v70, s[40:41]
	v_cndmask_b32_e64 v171, 0, v145, s[50:51]
	v_cndmask_b32_e64 v170, 0, v144, s[50:51]
	v_cndmask_b32_e64 v169, 0, v143, s[50:51]
	v_cndmask_b32_e64 v168, 0, v142, s[50:51]
	s_waitcnt vmcnt(0)
	v_cndmask_b32_e64 v163, 0, v9, s[46:47]
	v_cndmask_b32_e64 v162, 0, v8, s[46:47]
	v_cndmask_b32_e64 v161, 0, v7, s[46:47]
	v_cndmask_b32_e64 v160, 0, v6, s[46:47]
	scratch_load_dwordx4 v[6:9], off, off offset:260 ; 16-byte Folded Reload
	s_waitcnt vmcnt(0)
	v_cndmask_b32_e64 v183, 0, v9, s[54:55]
	v_cndmask_b32_e64 v182, 0, v8, s[54:55]
	v_cndmask_b32_e64 v181, 0, v7, s[54:55]
	v_cndmask_b32_e64 v180, 0, v6, s[54:55]
	scratch_load_dwordx4 v[6:9], off, off offset:228 ; 16-byte Folded Reload
	;; [unrolled: 6-line block ×5, first 2 shown]
	v_lshlrev_b32_e32 v0, 1, v40
	v_lshlrev_b32_e32 v1, 1, v1
	scratch_store_dword off, v1, off offset:84 ; 4-byte Folded Spill
	v_add_u32_e32 v2, v0, v1
	scratch_load_dword v1, off, off offset:352 ; 4-byte Folded Reload
	ds_write_b128 v0, v[18:21]
	ds_write_b128 v2, v[22:25] offset:512
	v_mov_b32_e32 v3, v2
	v_cndmask_b32_e64 v21, 0, v61, s[30:31]
	v_cndmask_b32_e64 v20, 0, v60, s[30:31]
	;; [unrolled: 1-line block ×8, first 2 shown]
	v_mov_b32_e32 v5, v3
	scratch_store_dword off, v5, off offset:276 ; 4-byte Folded Spill
	s_waitcnt vmcnt(3)
	v_cndmask_b32_e64 v215, 0, v9, s[62:63]
	v_cndmask_b32_e64 v214, 0, v8, s[62:63]
	;; [unrolled: 1-line block ×4, first 2 shown]
	s_waitcnt vmcnt(1)
	v_lshlrev_b32_e32 v1, 1, v1
	scratch_store_dword off, v1, off offset:88 ; 4-byte Folded Spill
	v_add3_u32 v1, v2, s92, v1
	scratch_load_dword v2, off, off offset:360 ; 4-byte Folded Reload
	ds_write_b128 v1, v[26:29] offset:512
	s_waitcnt vmcnt(0)
	v_lshlrev_b32_e32 v2, 1, v2
	scratch_store_dword off, v2, off offset:92 ; 4-byte Folded Spill
	v_add3_u32 v1, v1, s92, v2
	scratch_load_dword v2, off, off offset:368 ; 4-byte Folded Reload
	ds_write_b128 v1, v[30:33] offset:512
	;; [unrolled: 6-line block ×13, first 2 shown]
	s_waitcnt vmcnt(0)
	v_lshlrev_b32_e32 v2, 1, v2
	v_add3_u32 v1, v1, s92, v2
	scratch_store_dword off, v2, off offset:140 ; 4-byte Folded Spill
	scratch_store_dword off, v1, off offset:208 ; 4-byte Folded Spill
	ds_write_b128 v1, v[126:129] offset:512
	ds_write_b128 v0, v[18:21] offset:16384
	;; [unrolled: 1-line block ×3, first 2 shown]
	v_lshlrev_b32_e32 v0, 1, v209
	v_add_u32_e32 v1, s67, v209
	v_lshlrev_b32_e32 v2, 1, v1
	buffer_load_dwordx4 v[216:219], v0, s[72:75], 0 offen
	buffer_load_dwordx4 v[220:223], v2, s[72:75], 0 offen
	v_add_u32_e32 v0, s67, v1
	v_lshlrev_b32_e32 v1, 1, v0
	v_add_u32_e32 v0, s67, v0
	v_lshlrev_b32_e32 v2, 1, v0
	v_add_u32_e32 v0, s67, v0
	buffer_load_dwordx4 v[224:227], v1, s[72:75], 0 offen
	buffer_load_dwordx4 v[138:141], v2, s[72:75], 0 offen
	v_lshlrev_b32_e32 v1, 1, v0
	v_add_u32_e32 v0, s67, v0
	v_lshlrev_b32_e32 v2, 1, v0
	v_add_u32_e32 v0, s67, v0
	buffer_load_dwordx4 v[130:133], v1, s[72:75], 0 offen
	buffer_load_dwordx4 v[122:125], v2, s[72:75], 0 offen
	;; [unrolled: 6-line block ×6, first 2 shown]
	v_lshlrev_b32_e32 v1, 1, v0
	v_add_u32_e32 v0, s67, v0
	v_lshlrev_b32_e32 v2, 1, v0
	buffer_load_dwordx4 v[86:89], v1, s[72:75], 0 offen
	buffer_load_dwordx4 v[82:85], v2, s[72:75], 0 offen
	v_lshlrev_b32_e32 v1, 1, v192
	v_add_u32_e32 v2, s68, v192
	v_lshlrev_b32_e32 v3, 1, v2
	buffer_load_dwordx4 v[78:81], v1, s[76:79], 0 offen
	buffer_load_dwordx4 v[62:65], v3, s[76:79], 0 offen
	v_add_u32_e32 v1, s68, v2
	v_lshlrev_b32_e32 v2, 1, v1
	v_add_u32_e32 v1, s68, v1
	v_lshlrev_b32_e32 v3, 1, v1
	v_add_u32_e32 v1, s68, v1
	buffer_load_dwordx4 v[74:77], v2, s[76:79], 0 offen
	buffer_load_dwordx4 v[54:57], v3, s[76:79], 0 offen
	v_lshlrev_b32_e32 v2, 1, v1
	v_add_u32_e32 v1, s68, v1
	v_lshlrev_b32_e32 v3, 1, v1
	v_add_u32_e32 v1, s68, v1
	buffer_load_dwordx4 v[70:73], v2, s[76:79], 0 offen
	buffer_load_dwordx4 v[46:49], v3, s[76:79], 0 offen
	v_lshlrev_b32_e32 v2, 1, v1
	v_add_u32_e32 v1, s68, v1
	v_lshlrev_b32_e32 v3, 1, v1
	v_add_u32_e32 v1, s68, v1
	v_cndmask_b32_e64 v129, 0, v69, s[36:37]
	v_cndmask_b32_e64 v128, 0, v68, s[36:37]
	;; [unrolled: 1-line block ×4, first 2 shown]
	buffer_load_dwordx4 v[66:69], v2, s[76:79], 0 offen
	buffer_load_dwordx4 v[202:205], v3, s[76:79], 0 offen
	v_lshlrev_b32_e32 v2, 1, v1
	v_add_u32_e32 v1, s68, v1
	v_lshlrev_b32_e32 v3, 1, v1
	v_add_u32_e32 v1, s68, v1
	buffer_load_dwordx4 v[58:61], v2, s[76:79], 0 offen
	buffer_load_dwordx4 v[252:255], v3, s[76:79], 0 offen
	v_lshlrev_b32_e32 v2, 1, v1
	v_add_u32_e32 v1, s68, v1
	v_lshlrev_b32_e32 v3, 1, v1
	buffer_load_dwordx4 v[50:53], v2, s[76:79], 0 offen
	buffer_load_dwordx4 v[6:9], v3, s[76:79], 0 offen
	v_add_u32_e32 v1, s68, v1
	v_lshlrev_b32_e32 v2, 1, v1
	v_add_u32_e32 v1, s68, v1
	v_lshlrev_b32_e32 v3, 1, v1
	v_add_u32_e32 v1, s68, v1
	v_add_u32_e32 v0, s70, v0
	s_waitcnt vmcnt(0)
	scratch_store_dwordx4 off, v[6:9], off offset:280 ; 16-byte Folded Spill
	buffer_load_dwordx4 v[42:45], v2, s[76:79], 0 offen
	s_nop 0
	buffer_load_dwordx4 v[6:9], v3, s[76:79], 0 offen
	v_lshlrev_b32_e32 v2, 1, v1
	v_add_u32_e32 v1, s68, v1
	v_lshlrev_b32_e32 v3, 1, v1
	scratch_store_dword off, v0, off offset:68 ; 4-byte Folded Spill
	v_add_u32_e32 v0, s91, v1
	scratch_store_dword off, v0, off offset:52 ; 4-byte Folded Spill
	s_waitcnt vmcnt(2)
	scratch_store_dwordx4 off, v[6:9], off offset:260 ; 16-byte Folded Spill
	buffer_load_dwordx4 v[6:9], v2, s[76:79], 0 offen
	s_nop 0
	scratch_load_dword v2, off, off offset:356 ; 4-byte Folded Reload
	s_waitcnt vmcnt(1)
	scratch_store_dwordx4 off, v[6:9], off offset:300 ; 16-byte Folded Spill
	buffer_load_dwordx4 v[6:9], v3, s[76:79], 0 offen
	s_waitcnt vmcnt(2)
	v_lshl_add_u32 v3, v2, 1, v5
	scratch_load_dword v2, off, off offset:364 ; 4-byte Folded Reload
	ds_write_b128 v3, v[126:129] offset:16896
	scratch_store_dword off, v3, off offset:212 ; 4-byte Folded Spill
	s_waitcnt vmcnt(2)
	scratch_store_dwordx4 off, v[6:9], off offset:228 ; 16-byte Folded Spill
	s_waitcnt vmcnt(2)
	v_lshl_add_u32 v3, v2, 1, v3
	scratch_load_dword v2, off, off offset:372 ; 4-byte Folded Reload
	ds_write_b128 v3, v[134:137] offset:16896
	scratch_store_dword off, v3, off offset:244 ; 4-byte Folded Spill
	s_waitcnt vmcnt(1)
	v_lshl_add_u32 v3, v2, 1, v3
	scratch_load_dword v2, off, off offset:380 ; 4-byte Folded Reload
	ds_write_b128 v3, v[148:151] offset:16896
	scratch_store_dword off, v3, off offset:296 ; 4-byte Folded Spill
	;; [unrolled: 5-line block ×6, first 2 shown]
	s_waitcnt vmcnt(1)
	v_lshl_add_u32 v211, v2, 1, v3
	scratch_load_dword v2, off, off offset:420 ; 4-byte Folded Reload
	ds_write_b128 v211, v[168:171] offset:16896
	s_waitcnt vmcnt(0)
	v_lshl_add_u32 v210, v2, 1, v211
	scratch_load_dword v2, off, off offset:428 ; 4-byte Folded Reload
	ds_write_b128 v210, v[172:175] offset:16896
	;; [unrolled: 4-line block ×6, first 2 shown]
	s_waitcnt vmcnt(0)
	v_lshl_add_u32 v41, v2, 1, v146
	ds_write_b128 v41, v[212:215] offset:16896
	s_waitcnt lgkmcnt(0)
	; wave barrier
	ds_read_b128 v[134:137], v179
	ds_read_b128 v[148:151], v179 offset:16384
	scratch_load_dword v0, off, off offset:24 ; 4-byte Folded Reload
	s_waitcnt vmcnt(0)
	ds_read_b128 v[152:155], v0
	ds_read_b128 v[156:159], v0 offset:16384
	ds_read_b128 v[160:163], v178
	ds_read_b128 v[164:167], v178 offset:16384
	scratch_load_dword v0, off, off offset:12 ; 4-byte Folded Reload
	s_waitcnt vmcnt(0)
	ds_read_b128 v[168:171], v0
	ds_read_b128 v[172:175], v0 offset:16384
	ds_read_b128 v[180:183], v198
	ds_read_b128 v[184:187], v198 offset:16384
	;; [unrolled: 2-line block ×3, first 2 shown]
	scratch_load_dword v0, off, off offset:4 ; 4-byte Folded Reload
	s_waitcnt vmcnt(0)
	ds_read_b128 v[212:215], v0
	ds_read_b128 v[228:231], v0 offset:16384
	scratch_load_dword v0, off, off         ; 4-byte Folded Reload
	s_waitcnt vmcnt(0)
	ds_read_b128 v[232:235], v0
	ds_read_b128 v[236:239], v0 offset:16384
	scratch_load_dword v0, off, off offset:44 ; 4-byte Folded Reload
	s_waitcnt vmcnt(0)
	ds_read_b128 v[240:243], v0 offset:8192
	ds_read_b128 v[244:247], v0 offset:24576
	scratch_load_dword v0, off, off offset:40 ; 4-byte Folded Reload
	s_waitcnt vmcnt(0)
	ds_read_b128 v[248:251], v0 offset:8192
	;; [unrolled: 4-line block ×8, first 2 shown]
	ds_read_b128 v[32:35], v0 offset:24576
	; sched_barrier mask(0x00000000)
	; wave barrier
	; sched_barrier mask(0x00000000)
	scratch_load_dwordx4 v[0:3], off, off offset:176 ; 16-byte Folded Reload
	s_waitcnt vmcnt(0) lgkmcnt(14)
	v_mfma_f32_16x16x32_f16 v[0:3], v[134:137], v[148:151], v[0:3]
	; sched_barrier mask(0x00000000)
	s_setprio 1
	; sched_barrier mask(0x00000000)
	scratch_load_dwordx4 v[206:209], off, off offset:144 ; 16-byte Folded Reload
	v_mfma_f32_16x16x32_f16 v[0:3], v[152:155], v[156:159], v[0:3]
	v_mfma_f32_16x16x32_f16 v[0:3], v[160:163], v[164:167], v[0:3]
	;; [unrolled: 1-line block ×6, first 2 shown]
	s_waitcnt vmcnt(0)
	v_mfma_f32_16x16x32_f16 v[134:137], v[134:137], v[244:247], v[206:209]
	s_nop 2
	scratch_load_dwordx4 v[206:209], off, off offset:160 ; 16-byte Folded Reload
	s_waitcnt lgkmcnt(12)
	v_mfma_f32_16x16x32_f16 v[134:137], v[152:155], v[176:179], v[134:137]
	s_waitcnt lgkmcnt(10)
	v_mfma_f32_16x16x32_f16 v[134:137], v[160:163], v[198:201], v[134:137]
	;; [unrolled: 2-line block ×3, first 2 shown]
	v_mfma_f32_16x16x32_f16 v[160:163], v[232:235], v[236:239], v[0:3]
	s_waitcnt vmcnt(0)
	v_mfma_f32_16x16x32_f16 v[148:151], v[240:243], v[148:151], v[206:209]
	s_nop 2
	scratch_load_dwordx4 v[206:209], off, off offset:192 ; 16-byte Folded Reload
	v_mfma_f32_16x16x32_f16 v[148:151], v[248:251], v[156:159], v[148:151]
	v_mfma_f32_16x16x32_f16 v[148:151], v[142:145], v[164:167], v[148:151]
	;; [unrolled: 1-line block ×3, first 2 shown]
	s_waitcnt vmcnt(0)
	v_mfma_f32_16x16x32_f16 v[240:243], v[240:243], v[244:247], v[206:209]
	v_mfma_f32_16x16x32_f16 v[152:155], v[248:251], v[176:179], v[240:243]
	;; [unrolled: 1-line block ×4, first 2 shown]
	s_waitcnt lgkmcnt(6)
	v_mfma_f32_16x16x32_f16 v[126:129], v[180:183], v[8:11], v[134:137]
	v_mfma_f32_16x16x32_f16 v[134:137], v[12:15], v[184:187], v[148:151]
	;; [unrolled: 1-line block ×3, first 2 shown]
	s_waitcnt lgkmcnt(4)
	v_mfma_f32_16x16x32_f16 v[8:11], v[188:191], v[16:19], v[126:129]
	v_mfma_f32_16x16x32_f16 v[12:15], v[20:23], v[194:197], v[134:137]
	s_waitcnt lgkmcnt(2)
	v_mfma_f32_16x16x32_f16 v[8:11], v[212:215], v[24:27], v[8:11]
	v_mfma_f32_16x16x32_f16 v[12:15], v[28:31], v[228:231], v[12:15]
	;; [unrolled: 1-line block ×3, first 2 shown]
	s_waitcnt lgkmcnt(0)
	v_mfma_f32_16x16x32_f16 v[156:159], v[232:235], v[32:35], v[8:11]
	v_mfma_f32_16x16x32_f16 v[152:155], v[36:39], v[236:239], v[12:15]
	;; [unrolled: 1-line block ×3, first 2 shown]
	; sched_barrier mask(0x00000000)
	s_waitcnt lgkmcnt(0)
	; wave barrier
	; sched_barrier mask(0x00000000)
	v_mfma_f32_16x16x32_f16 v[148:151], v[36:39], v[32:35], v[4:7]
	; sched_barrier mask(0x00000000)
	s_setprio 0
	; sched_barrier mask(0x00000000)
	v_cndmask_b32_e64 v36, 0, v106, s[16:17]
	scratch_load_dword v106, off, off offset:464 ; 4-byte Folded Reload
	v_cndmask_b32_e64 v37, 0, v107, s[16:17]
	scratch_load_dword v107, off, off offset:208 ; 4-byte Folded Reload
	v_cndmask_b32_e32 v3, 0, v219, vcc
	v_cndmask_b32_e32 v2, 0, v218, vcc
	;; [unrolled: 1-line block ×4, first 2 shown]
	v_cndmask_b32_e64 v7, 0, v223, s[0:1]
	v_cndmask_b32_e64 v6, 0, v222, s[0:1]
	;; [unrolled: 1-line block ×62, first 2 shown]
	s_add_i32 s71, s71, 2
	s_cmp_lt_i32 s71, s80
	s_waitcnt vmcnt(1)
	v_lshlrev_b32_e32 v106, 1, v106
	s_waitcnt vmcnt(0)
	v_add3_u32 v107, v107, s92, v106
	ds_write_b128 v107, v[0:3]
	scratch_load_dword v0, off, off offset:84 ; 4-byte Folded Reload
	scratch_load_dword v1, off, off offset:88 ; 4-byte Folded Reload
	v_cndmask_b32_e64 v3, 0, v81, s[30:31]
	v_cndmask_b32_e64 v2, 0, v80, s[30:31]
	s_waitcnt vmcnt(1)
	v_add_u32_e32 v0, v107, v0
	ds_write_b128 v0, v[4:7] offset:512
	s_waitcnt vmcnt(0)
	v_add3_u32 v0, v0, s92, v1
	scratch_load_dword v1, off, off offset:92 ; 4-byte Folded Reload
	ds_write_b128 v0, v[8:11] offset:512
	v_cndmask_b32_e64 v7, 0, v65, s[34:35]
	v_cndmask_b32_e64 v6, 0, v64, s[34:35]
	v_cndmask_b32_e64 v5, 0, v63, s[34:35]
	v_cndmask_b32_e64 v4, 0, v62, s[34:35]
	scratch_load_dwordx4 v[62:65], off, off offset:228 ; 16-byte Folded Reload
	v_cndmask_b32_e64 v11, 0, v77, s[36:37]
	v_cndmask_b32_e64 v10, 0, v76, s[36:37]
	;; [unrolled: 1-line block ×4, first 2 shown]
	s_waitcnt vmcnt(1)
	v_add3_u32 v0, v0, s92, v1
	scratch_load_dword v1, off, off offset:96 ; 4-byte Folded Reload
	ds_write_b128 v0, v[12:15] offset:512
	v_cndmask_b32_e64 v15, 0, v57, s[38:39]
	v_cndmask_b32_e64 v14, 0, v56, s[38:39]
	;; [unrolled: 1-line block ×4, first 2 shown]
	scratch_load_dwordx4 v[54:57], off, off offset:260 ; 16-byte Folded Reload
	s_waitcnt vmcnt(2)
	v_cndmask_b32_e64 v65, 0, v65, s[62:63]
	v_cndmask_b32_e64 v64, 0, v64, s[62:63]
	;; [unrolled: 1-line block ×4, first 2 shown]
	s_waitcnt vmcnt(1)
	v_add3_u32 v0, v0, s92, v1
	scratch_load_dword v1, off, off offset:100 ; 4-byte Folded Reload
	ds_write_b128 v0, v[16:19] offset:512
	v_cndmask_b32_e64 v19, 0, v73, s[40:41]
	v_cndmask_b32_e64 v18, 0, v72, s[40:41]
	;; [unrolled: 1-line block ×4, first 2 shown]
	s_waitcnt vmcnt(1)
	v_cndmask_b32_e64 v57, 0, v57, s[58:59]
	v_cndmask_b32_e64 v56, 0, v56, s[58:59]
	;; [unrolled: 1-line block ×4, first 2 shown]
	s_waitcnt vmcnt(0)
	v_add3_u32 v0, v0, s92, v1
	scratch_load_dword v1, off, off offset:104 ; 4-byte Folded Reload
	ds_write_b128 v0, v[20:23] offset:512
	v_cndmask_b32_e64 v23, 0, v49, s[42:43]
	v_cndmask_b32_e64 v22, 0, v48, s[42:43]
	;; [unrolled: 1-line block ×8, first 2 shown]
	scratch_load_dwordx4 v[50:53], off, off offset:280 ; 16-byte Folded Reload
	s_waitcnt vmcnt(1)
	v_add3_u32 v0, v0, s92, v1
	scratch_load_dword v1, off, off offset:108 ; 4-byte Folded Reload
	ds_write_b128 v0, v[24:27] offset:512
	v_cndmask_b32_e64 v24, 0, v66, s[44:45]
	v_add_u32_e32 v66, v41, v106
	v_cndmask_b32_e64 v27, 0, v69, s[44:45]
	v_cndmask_b32_e64 v26, 0, v68, s[44:45]
	;; [unrolled: 1-line block ×3, first 2 shown]
	s_waitcnt vmcnt(1)
	v_cndmask_b32_e64 v53, 0, v53, s[54:55]
	v_cndmask_b32_e64 v52, 0, v52, s[54:55]
	;; [unrolled: 1-line block ×4, first 2 shown]
	s_waitcnt vmcnt(0)
	v_add3_u32 v0, v0, s92, v1
	scratch_load_dword v1, off, off offset:112 ; 4-byte Folded Reload
	ds_write_b128 v0, v[28:31] offset:512
	v_cndmask_b32_e64 v31, 0, v205, s[46:47]
	v_cndmask_b32_e64 v30, 0, v204, s[46:47]
	;; [unrolled: 1-line block ×4, first 2 shown]
	s_waitcnt vmcnt(0)
	v_add3_u32 v0, v0, s92, v1
	scratch_load_dword v1, off, off offset:116 ; 4-byte Folded Reload
	ds_write_b128 v0, v[32:35] offset:512
	v_cndmask_b32_e64 v35, 0, v61, s[48:49]
	v_cndmask_b32_e64 v34, 0, v60, s[48:49]
	;; [unrolled: 1-line block ×4, first 2 shown]
	scratch_load_dwordx4 v[58:61], off, off offset:300 ; 16-byte Folded Reload
	s_waitcnt vmcnt(1)
	v_add3_u32 v0, v0, s92, v1
	scratch_load_dword v1, off, off offset:120 ; 4-byte Folded Reload
	ds_write_b128 v0, v[36:39] offset:512
	v_cndmask_b32_e64 v39, 0, v255, s[50:51]
	v_cndmask_b32_e64 v38, 0, v254, s[50:51]
	;; [unrolled: 1-line block ×4, first 2 shown]
	s_waitcnt vmcnt(1)
	v_cndmask_b32_e64 v61, 0, v61, s[60:61]
	v_cndmask_b32_e64 v60, 0, v60, s[60:61]
	;; [unrolled: 1-line block ×4, first 2 shown]
	s_waitcnt vmcnt(0)
	v_add3_u32 v0, v0, s92, v1
	scratch_load_dword v1, off, off offset:124 ; 4-byte Folded Reload
	ds_write_b128 v0, v[102:105] offset:512
	s_waitcnt vmcnt(0)
	v_add3_u32 v0, v0, s92, v1
	scratch_load_dword v1, off, off offset:128 ; 4-byte Folded Reload
	ds_write_b128 v0, v[98:101] offset:512
	;; [unrolled: 4-line block ×5, first 2 shown]
	s_waitcnt vmcnt(0)
	v_add3_u32 v0, v0, s92, v1
	ds_write_b128 v0, v[82:85] offset:512
	scratch_load_dword v0, off, off offset:468 ; 4-byte Folded Reload
	v_cndmask_b32_e64 v1, 0, v79, s[30:31]
	s_waitcnt vmcnt(0)
	v_add_u32_e32 v40, v40, v0
	v_cndmask_b32_e64 v0, 0, v78, s[30:31]
	ds_write_b128 v66, v[0:3] offset:16896
	scratch_load_dword v0, off, off offset:276 ; 4-byte Folded Reload
	s_waitcnt vmcnt(0)
	ds_write_b128 v0, v[4:7] offset:16896
	scratch_load_dword v0, off, off offset:212 ; 4-byte Folded Reload
	s_waitcnt vmcnt(0)
	;; [unrolled: 3-line block ×7, first 2 shown]
	ds_write_b128 v0, v[28:31] offset:16896
	scratch_load_dword v0, off, off offset:328 ; 4-byte Folded Reload
	s_nop 0
	scratch_store_dword off, v40, off offset:48 ; 4-byte Folded Spill
	s_waitcnt vmcnt(1)
	ds_write_b128 v0, v[32:35] offset:16896
	ds_write_b128 v211, v[36:39] offset:16896
	;; [unrolled: 1-line block ×8, first 2 shown]
	scratch_load_dword v1, off, off offset:68 ; 4-byte Folded Reload
	scratch_load_dword v2, off, off offset:52 ; 4-byte Folded Reload
	s_waitcnt vmcnt(1)
	v_lshlrev_b32_e32 v0, 1, v1
	buffer_load_dwordx4 v[50:53], v0, s[72:75], 0 offen
	v_add_u32_e32 v0, s67, v1
	v_lshlrev_b32_e32 v1, 1, v0
	v_add_u32_e32 v0, s67, v0
	buffer_load_dwordx4 v[46:49], v1, s[72:75], 0 offen
	v_lshlrev_b32_e32 v1, 1, v0
	v_add_u32_e32 v0, s67, v0
	buffer_load_dwordx4 v[86:89], v1, s[72:75], 0 offen
	;; [unrolled: 3-line block ×3, first 2 shown]
	v_lshlrev_b32_e32 v1, 1, v0
	buffer_load_dwordx4 v[90:93], v1, s[72:75], 0 offen
	s_waitcnt vmcnt(5)
	v_lshlrev_b32_e32 v1, 1, v2
	buffer_load_dwordx4 v[22:25], v1, s[76:79], 0 offen
	v_add_u32_e32 v1, s68, v2
	v_lshlrev_b32_e32 v2, 1, v1
	v_add_u32_e32 v1, s68, v1
	buffer_load_dwordx4 v[18:21], v2, s[76:79], 0 offen
	v_lshlrev_b32_e32 v2, 1, v1
	v_add_u32_e32 v1, s68, v1
	buffer_load_dwordx4 v[66:69], v2, s[76:79], 0 offen
	;; [unrolled: 3-line block ×4, first 2 shown]
	v_add_u32_e32 v2, s90, v1
	v_lshlrev_b32_e32 v1, 1, v0
	v_add_u32_e32 v0, s89, v0
	buffer_load_dwordx4 v[94:97], v1, s[72:75], 0 offen
	v_lshlrev_b32_e32 v1, 1, v0
	v_add_u32_e32 v0, s89, v0
	buffer_load_dwordx4 v[98:101], v1, s[72:75], 0 offen
	;; [unrolled: 3-line block ×8, first 2 shown]
	v_lshlrev_b32_e32 v1, 1, v0
	v_add_u32_e32 v0, s89, v0
	v_add_u32_e32 v146, s89, v0
	buffer_load_dwordx4 v[126:129], v1, s[72:75], 0 offen
	v_lshlrev_b32_e32 v1, 1, v0
	v_lshlrev_b32_e32 v0, 1, v146
	v_add_u32_e32 v3, s90, v2
	buffer_load_dwordx4 v[34:37], v1, s[72:75], 0 offen
	buffer_load_dwordx4 v[78:81], v0, s[72:75], 0 offen
	v_lshlrev_b32_e32 v0, 1, v2
	v_add_u32_e32 v4, s90, v3
	buffer_load_dwordx4 v[42:45], v0, s[76:79], 0 offen
	v_lshlrev_b32_e32 v0, 1, v3
	v_add_u32_e32 v5, s90, v4
	buffer_load_dwordx4 v[38:41], v0, s[76:79], 0 offen
	v_lshlrev_b32_e32 v0, 1, v4
	v_add_u32_e32 v6, s90, v5
	buffer_load_dwordx4 v[74:77], v0, s[76:79], 0 offen
	v_lshlrev_b32_e32 v0, 1, v5
	v_add_u32_e32 v7, s90, v6
	buffer_load_dwordx4 v[30:33], v0, s[76:79], 0 offen
	v_lshlrev_b32_e32 v0, 1, v6
	v_add_u32_e32 v8, s90, v7
	buffer_load_dwordx4 v[142:145], v0, s[76:79], 0 offen
	v_lshlrev_b32_e32 v0, 1, v7
	v_add_u32_e32 v9, s90, v8
	buffer_load_dwordx4 v[138:141], v0, s[76:79], 0 offen
	v_lshlrev_b32_e32 v0, 1, v8
	v_add_u32_e32 v10, s90, v9
	buffer_load_dwordx4 v[58:61], v0, s[76:79], 0 offen
	v_lshlrev_b32_e32 v0, 1, v9
	v_add_u32_e32 v11, s90, v10
	buffer_load_dwordx4 v[134:137], v0, s[76:79], 0 offen
	v_lshlrev_b32_e32 v0, 1, v10
	v_add_u32_e32 v1, s90, v11
	buffer_load_dwordx4 v[130:133], v0, s[76:79], 0 offen
	v_lshlrev_b32_e32 v0, 1, v11
	buffer_load_dwordx4 v[62:65], v0, s[76:79], 0 offen
	v_lshlrev_b32_e32 v0, 1, v1
	buffer_load_dwordx4 v[54:57], v0, s[76:79], 0 offen
	s_cbranch_scc1 .LBB3_12
; %bb.13:
	s_waitcnt lgkmcnt(0)
	; wave barrier
	scratch_load_dword v4, off, off offset:332 ; 4-byte Folded Reload
	s_lshl_b64 s[0:1], s[86:87], 1
	s_add_u32 s4, s84, s0
	s_addc_u32 s2, s85, s1
	s_mul_i32 s0, s33, s69
	s_mul_hi_u32 s1, 0, s69
	s_add_i32 s3, s1, s0
	s_waitcnt vmcnt(0)
	ds_read_b128 v[0:3], v4
	ds_read_b128 v[4:7], v4 offset:16384
	scratch_load_dword v12, off, off offset:24 ; 4-byte Folded Reload
	s_waitcnt vmcnt(0)
	ds_read_b128 v[8:11], v12
	ds_read_b128 v[12:15], v12 offset:16384
	scratch_load_dword v20, off, off offset:344 ; 4-byte Folded Reload
	;; [unrolled: 4-line block ×6, first 2 shown]
	s_waitcnt vmcnt(0)
	ds_read_b128 v[48:51], v52
	ds_read_b128 v[52:55], v52 offset:16384
	scratch_load_dword v60, off, off        ; 4-byte Folded Reload
	s_waitcnt vmcnt(0)
	ds_read_b128 v[56:59], v60
	ds_read_b128 v[60:63], v60 offset:16384
	scratch_load_dword v68, off, off offset:44 ; 4-byte Folded Reload
	s_waitcnt vmcnt(0)
	ds_read_b128 v[64:67], v68 offset:8192
	ds_read_b128 v[68:71], v68 offset:24576
	scratch_load_dword v76, off, off offset:40 ; 4-byte Folded Reload
	s_waitcnt vmcnt(0)
	ds_read_b128 v[72:75], v76 offset:8192
	;; [unrolled: 4-line block ×8, first 2 shown]
	ds_read_b128 v[124:127], v124 offset:24576
	; sched_barrier mask(0x00000000)
	; wave barrier
	; sched_barrier mask(0x00000000)
	s_waitcnt lgkmcnt(14)
	v_mfma_f32_16x16x32_f16 v[128:131], v[0:3], v[4:7], v[160:163]
	; sched_barrier mask(0x00000000)
	s_setprio 1
	; sched_barrier mask(0x00000000)
	v_mfma_f32_16x16x32_f16 v[0:3], v[0:3], v[68:71], v[156:159]
	v_mfma_f32_16x16x32_f16 v[4:7], v[64:67], v[4:7], v[152:155]
	v_mfma_f32_16x16x32_f16 v[64:67], v[64:67], v[68:71], v[148:151]
	v_mfma_f32_16x16x32_f16 v[68:71], v[8:11], v[12:15], v[128:131]
	s_waitcnt lgkmcnt(12)
	v_mfma_f32_16x16x32_f16 v[0:3], v[8:11], v[76:79], v[0:3]
	v_mfma_f32_16x16x32_f16 v[4:7], v[72:75], v[12:15], v[4:7]
	v_mfma_f32_16x16x32_f16 v[8:11], v[72:75], v[76:79], v[64:67]
	v_mfma_f32_16x16x32_f16 v[12:15], v[16:19], v[20:23], v[68:71]
	s_waitcnt lgkmcnt(10)
	;; [unrolled: 5-line block ×7, first 2 shown]
	v_mfma_f32_16x16x32_f16 v[0:3], v[56:59], v[124:127], v[0:3]
	v_mfma_f32_16x16x32_f16 v[4:7], v[120:123], v[60:63], v[4:7]
	; sched_barrier mask(0x00000000)
	s_waitcnt lgkmcnt(0)
	; wave barrier
	; sched_barrier mask(0x00000000)
	v_mfma_f32_16x16x32_f16 v[8:11], v[120:123], v[124:127], v[8:11]
	; sched_barrier mask(0x00000000)
	s_setprio 0
	; sched_barrier mask(0x00000000)
	scratch_load_dword v16, off, off offset:472 ; 4-byte Folded Reload
	s_nop 0
	v_cvt_f16_f32_e32 v12, v12
	v_cvt_f16_f32_e32 v13, v13
	v_cvt_f16_f32_e32 v14, v14
	v_cvt_f16_f32_e32 v15, v15
	s_add_i32 s3, s65, s3
	v_cvt_f16_f32_e32 v0, v0
	s_lshl_b32 s6, s3, 1
	s_and_b32 s5, s2, 0xffff
	v_cvt_f16_f32_e32 v1, v1
	v_cvt_f16_f32_e32 v2, v2
	s_mov_b32 s7, 0x20000
	v_cvt_f16_f32_e32 v3, v3
	s_lshl_b32 s8, s69, 4
	s_waitcnt vmcnt(0)
	v_lshrrev_b32_e32 v17, 2, v16
	scratch_load_dword v16, off, off offset:484 ; 4-byte Folded Reload
	v_lshl_or_b32 v21, s88, 5, v17
	s_waitcnt lgkmcnt(0)
	; wave barrier
	scratch_load_dword v22, off, off offset:480 ; 4-byte Folded Reload
	s_waitcnt vmcnt(1)
	v_and_b32_e32 v20, 12, v16
	v_or_b32_e32 v16, s66, v20
	v_mad_u64_u32 v[18:19], s[0:1], v21, s69, v[16:17]
	scratch_load_dword v19, off, off offset:476 ; 4-byte Folded Reload
	v_cmp_gt_i32_e32 vcc, s65, v16
	v_cmp_gt_i32_e64 s[0:1], s64, v21
	s_and_b64 s[2:3], s[0:1], vcc
	s_waitcnt vmcnt(0)
	v_lshlrev_b32_e32 v19, 1, v19
	v_lshl_add_u32 v19, v22, 1, v19
	ds_write_b16 v19, v12
	ds_write_b16 v19, v13 offset:32
	ds_write_b16 v19, v14 offset:64
	;; [unrolled: 1-line block ×3, first 2 shown]
	v_lshlrev_b32_e32 v12, 1, v20
	v_lshl_or_b32 v14, v17, 5, v12
	s_waitcnt lgkmcnt(0)
	; wave barrier
	ds_read_b64 v[12:13], v14
	v_bfrev_b32_e32 v15, 1
	v_cndmask_b32_e64 v17, v15, 0, s[2:3]
	v_lshl_add_u32 v17, v18, 1, v17
	s_waitcnt lgkmcnt(0)
	buffer_store_dwordx2 v[12:13], v17, s[4:7], 0 offen
	v_or_b32_e32 v12, 16, v16
	s_waitcnt lgkmcnt(0)
	; wave barrier
	ds_write_b16 v19, v0
	ds_write_b16 v19, v1 offset:32
	ds_write_b16 v19, v2 offset:64
	;; [unrolled: 1-line block ×3, first 2 shown]
	s_waitcnt lgkmcnt(0)
	; wave barrier
	ds_read_b64 v[0:1], v14
	v_cmp_gt_i32_e64 s[2:3], s65, v12
	s_and_b64 s[0:1], s[0:1], s[2:3]
	v_add_u32_e32 v13, 16, v18
	v_cndmask_b32_e64 v2, v15, 0, s[0:1]
	v_lshl_add_u32 v2, v13, 1, v2
	s_waitcnt lgkmcnt(0)
	buffer_store_dwordx2 v[0:1], v2, s[4:7], 0 offen
	v_cvt_f16_f32_e32 v0, v8
	v_cvt_f16_f32_e32 v1, v9
	;; [unrolled: 1-line block ×4, first 2 shown]
	v_or_b32_e32 v2, 16, v21
	s_waitcnt lgkmcnt(0)
	; wave barrier
	ds_write_b16 v19, v0
	ds_write_b16 v19, v1 offset:32
	ds_write_b16 v19, v8 offset:64
	;; [unrolled: 1-line block ×3, first 2 shown]
	s_waitcnt lgkmcnt(0)
	; wave barrier
	ds_read_b64 v[0:1], v14
	v_cmp_gt_i32_e64 s[0:1], s64, v2
	s_and_b64 s[2:3], s[0:1], s[2:3]
	v_add_u32_e32 v3, s8, v13
	v_cndmask_b32_e64 v2, v15, 0, s[2:3]
	v_lshl_add_u32 v2, v3, 1, v2
	s_waitcnt lgkmcnt(0)
	buffer_store_dwordx2 v[0:1], v2, s[4:7], 0 offen
	v_cvt_f16_f32_e32 v0, v4
	v_cvt_f16_f32_e32 v1, v5
	;; [unrolled: 1-line block ×4, first 2 shown]
	s_waitcnt lgkmcnt(0)
	; wave barrier
	ds_write_b16 v19, v0
	ds_write_b16 v19, v1 offset:32
	ds_write_b16 v19, v2 offset:64
	;; [unrolled: 1-line block ×3, first 2 shown]
	s_waitcnt lgkmcnt(0)
	; wave barrier
	ds_read_b64 v[0:1], v14
	s_and_b64 s[0:1], vcc, s[0:1]
	v_add_u32_e32 v2, s8, v18
	v_cndmask_b32_e64 v3, v15, 0, s[0:1]
	v_lshl_add_u32 v2, v2, 1, v3
	s_waitcnt lgkmcnt(0)
	buffer_store_dwordx2 v[0:1], v2, s[4:7], 0 offen
	s_endpgm
	.section	.rodata,"a",@progbits
	.p2align	6, 0x0
	.amdhsa_kernel _ZN2ck27kernel_gemm_xdl_cshuffle_v3INS_28GridwiseGemm_xdl_cshuffle_v3INS_13tensor_layout4gemm8RowMajorENS3_11ColumnMajorES4_DF16_DF16_fDF16_DF16_NS_16tensor_operation12element_wise11PassThroughES8_S8_LNS6_6device18GemmSpecializationE4ELi64ELi32ELi32ELi256ELi8ELi8ELi16ELi16ELi2ELi2ENS_8SequenceIJLi32ELi2ELi1EEEENSB_IJLi1ELi0ELi2EEEESD_Li2ELi8ELi8ELb0ELi0ESC_SD_SD_Li2ELi8ELi8ELb0ELi0ELi1ELi1ENSB_IJLi1ELi16ELi1ELi4EEEELi4ELNS_26BlockGemmPipelineSchedulerE1ELNS_24BlockGemmPipelineVersionE1EDF16_DF16_Lb0ELb0ELb0ELi0ELb0EEELb1ELNS_25InMemoryDataOperationEnumE0ELi2ELNS_10TailNumberE2EEEvNT_8ArgumentE
		.amdhsa_group_segment_fixed_size 32768
		.amdhsa_private_segment_fixed_size 492
		.amdhsa_kernarg_size 112
		.amdhsa_user_sgpr_count 2
		.amdhsa_user_sgpr_dispatch_ptr 0
		.amdhsa_user_sgpr_queue_ptr 0
		.amdhsa_user_sgpr_kernarg_segment_ptr 1
		.amdhsa_user_sgpr_dispatch_id 0
		.amdhsa_user_sgpr_kernarg_preload_length 0
		.amdhsa_user_sgpr_kernarg_preload_offset 0
		.amdhsa_user_sgpr_private_segment_size 0
		.amdhsa_uses_dynamic_stack 0
		.amdhsa_enable_private_segment 1
		.amdhsa_system_sgpr_workgroup_id_x 1
		.amdhsa_system_sgpr_workgroup_id_y 0
		.amdhsa_system_sgpr_workgroup_id_z 1
		.amdhsa_system_sgpr_workgroup_info 0
		.amdhsa_system_vgpr_workitem_id 0
		.amdhsa_next_free_vgpr 256
		.amdhsa_next_free_sgpr 96
		.amdhsa_accum_offset 256
		.amdhsa_reserve_vcc 1
		.amdhsa_float_round_mode_32 0
		.amdhsa_float_round_mode_16_64 0
		.amdhsa_float_denorm_mode_32 3
		.amdhsa_float_denorm_mode_16_64 3
		.amdhsa_dx10_clamp 1
		.amdhsa_ieee_mode 1
		.amdhsa_fp16_overflow 0
		.amdhsa_tg_split 0
		.amdhsa_exception_fp_ieee_invalid_op 0
		.amdhsa_exception_fp_denorm_src 0
		.amdhsa_exception_fp_ieee_div_zero 0
		.amdhsa_exception_fp_ieee_overflow 0
		.amdhsa_exception_fp_ieee_underflow 0
		.amdhsa_exception_fp_ieee_inexact 0
		.amdhsa_exception_int_div_zero 0
	.end_amdhsa_kernel
	.section	.text._ZN2ck27kernel_gemm_xdl_cshuffle_v3INS_28GridwiseGemm_xdl_cshuffle_v3INS_13tensor_layout4gemm8RowMajorENS3_11ColumnMajorES4_DF16_DF16_fDF16_DF16_NS_16tensor_operation12element_wise11PassThroughES8_S8_LNS6_6device18GemmSpecializationE4ELi64ELi32ELi32ELi256ELi8ELi8ELi16ELi16ELi2ELi2ENS_8SequenceIJLi32ELi2ELi1EEEENSB_IJLi1ELi0ELi2EEEESD_Li2ELi8ELi8ELb0ELi0ESC_SD_SD_Li2ELi8ELi8ELb0ELi0ELi1ELi1ENSB_IJLi1ELi16ELi1ELi4EEEELi4ELNS_26BlockGemmPipelineSchedulerE1ELNS_24BlockGemmPipelineVersionE1EDF16_DF16_Lb0ELb0ELb0ELi0ELb0EEELb1ELNS_25InMemoryDataOperationEnumE0ELi2ELNS_10TailNumberE2EEEvNT_8ArgumentE,"axG",@progbits,_ZN2ck27kernel_gemm_xdl_cshuffle_v3INS_28GridwiseGemm_xdl_cshuffle_v3INS_13tensor_layout4gemm8RowMajorENS3_11ColumnMajorES4_DF16_DF16_fDF16_DF16_NS_16tensor_operation12element_wise11PassThroughES8_S8_LNS6_6device18GemmSpecializationE4ELi64ELi32ELi32ELi256ELi8ELi8ELi16ELi16ELi2ELi2ENS_8SequenceIJLi32ELi2ELi1EEEENSB_IJLi1ELi0ELi2EEEESD_Li2ELi8ELi8ELb0ELi0ESC_SD_SD_Li2ELi8ELi8ELb0ELi0ELi1ELi1ENSB_IJLi1ELi16ELi1ELi4EEEELi4ELNS_26BlockGemmPipelineSchedulerE1ELNS_24BlockGemmPipelineVersionE1EDF16_DF16_Lb0ELb0ELb0ELi0ELb0EEELb1ELNS_25InMemoryDataOperationEnumE0ELi2ELNS_10TailNumberE2EEEvNT_8ArgumentE,comdat
.Lfunc_end3:
	.size	_ZN2ck27kernel_gemm_xdl_cshuffle_v3INS_28GridwiseGemm_xdl_cshuffle_v3INS_13tensor_layout4gemm8RowMajorENS3_11ColumnMajorES4_DF16_DF16_fDF16_DF16_NS_16tensor_operation12element_wise11PassThroughES8_S8_LNS6_6device18GemmSpecializationE4ELi64ELi32ELi32ELi256ELi8ELi8ELi16ELi16ELi2ELi2ENS_8SequenceIJLi32ELi2ELi1EEEENSB_IJLi1ELi0ELi2EEEESD_Li2ELi8ELi8ELb0ELi0ESC_SD_SD_Li2ELi8ELi8ELb0ELi0ELi1ELi1ENSB_IJLi1ELi16ELi1ELi4EEEELi4ELNS_26BlockGemmPipelineSchedulerE1ELNS_24BlockGemmPipelineVersionE1EDF16_DF16_Lb0ELb0ELb0ELi0ELb0EEELb1ELNS_25InMemoryDataOperationEnumE0ELi2ELNS_10TailNumberE2EEEvNT_8ArgumentE, .Lfunc_end3-_ZN2ck27kernel_gemm_xdl_cshuffle_v3INS_28GridwiseGemm_xdl_cshuffle_v3INS_13tensor_layout4gemm8RowMajorENS3_11ColumnMajorES4_DF16_DF16_fDF16_DF16_NS_16tensor_operation12element_wise11PassThroughES8_S8_LNS6_6device18GemmSpecializationE4ELi64ELi32ELi32ELi256ELi8ELi8ELi16ELi16ELi2ELi2ENS_8SequenceIJLi32ELi2ELi1EEEENSB_IJLi1ELi0ELi2EEEESD_Li2ELi8ELi8ELb0ELi0ESC_SD_SD_Li2ELi8ELi8ELb0ELi0ELi1ELi1ENSB_IJLi1ELi16ELi1ELi4EEEELi4ELNS_26BlockGemmPipelineSchedulerE1ELNS_24BlockGemmPipelineVersionE1EDF16_DF16_Lb0ELb0ELb0ELi0ELb0EEELb1ELNS_25InMemoryDataOperationEnumE0ELi2ELNS_10TailNumberE2EEEvNT_8ArgumentE
                                        ; -- End function
	.set _ZN2ck27kernel_gemm_xdl_cshuffle_v3INS_28GridwiseGemm_xdl_cshuffle_v3INS_13tensor_layout4gemm8RowMajorENS3_11ColumnMajorES4_DF16_DF16_fDF16_DF16_NS_16tensor_operation12element_wise11PassThroughES8_S8_LNS6_6device18GemmSpecializationE4ELi64ELi32ELi32ELi256ELi8ELi8ELi16ELi16ELi2ELi2ENS_8SequenceIJLi32ELi2ELi1EEEENSB_IJLi1ELi0ELi2EEEESD_Li2ELi8ELi8ELb0ELi0ESC_SD_SD_Li2ELi8ELi8ELb0ELi0ELi1ELi1ENSB_IJLi1ELi16ELi1ELi4EEEELi4ELNS_26BlockGemmPipelineSchedulerE1ELNS_24BlockGemmPipelineVersionE1EDF16_DF16_Lb0ELb0ELb0ELi0ELb0EEELb1ELNS_25InMemoryDataOperationEnumE0ELi2ELNS_10TailNumberE2EEEvNT_8ArgumentE.num_vgpr, 256
	.set _ZN2ck27kernel_gemm_xdl_cshuffle_v3INS_28GridwiseGemm_xdl_cshuffle_v3INS_13tensor_layout4gemm8RowMajorENS3_11ColumnMajorES4_DF16_DF16_fDF16_DF16_NS_16tensor_operation12element_wise11PassThroughES8_S8_LNS6_6device18GemmSpecializationE4ELi64ELi32ELi32ELi256ELi8ELi8ELi16ELi16ELi2ELi2ENS_8SequenceIJLi32ELi2ELi1EEEENSB_IJLi1ELi0ELi2EEEESD_Li2ELi8ELi8ELb0ELi0ESC_SD_SD_Li2ELi8ELi8ELb0ELi0ELi1ELi1ENSB_IJLi1ELi16ELi1ELi4EEEELi4ELNS_26BlockGemmPipelineSchedulerE1ELNS_24BlockGemmPipelineVersionE1EDF16_DF16_Lb0ELb0ELb0ELi0ELb0EEELb1ELNS_25InMemoryDataOperationEnumE0ELi2ELNS_10TailNumberE2EEEvNT_8ArgumentE.num_agpr, 0
	.set _ZN2ck27kernel_gemm_xdl_cshuffle_v3INS_28GridwiseGemm_xdl_cshuffle_v3INS_13tensor_layout4gemm8RowMajorENS3_11ColumnMajorES4_DF16_DF16_fDF16_DF16_NS_16tensor_operation12element_wise11PassThroughES8_S8_LNS6_6device18GemmSpecializationE4ELi64ELi32ELi32ELi256ELi8ELi8ELi16ELi16ELi2ELi2ENS_8SequenceIJLi32ELi2ELi1EEEENSB_IJLi1ELi0ELi2EEEESD_Li2ELi8ELi8ELb0ELi0ESC_SD_SD_Li2ELi8ELi8ELb0ELi0ELi1ELi1ENSB_IJLi1ELi16ELi1ELi4EEEELi4ELNS_26BlockGemmPipelineSchedulerE1ELNS_24BlockGemmPipelineVersionE1EDF16_DF16_Lb0ELb0ELb0ELi0ELb0EEELb1ELNS_25InMemoryDataOperationEnumE0ELi2ELNS_10TailNumberE2EEEvNT_8ArgumentE.numbered_sgpr, 95
	.set _ZN2ck27kernel_gemm_xdl_cshuffle_v3INS_28GridwiseGemm_xdl_cshuffle_v3INS_13tensor_layout4gemm8RowMajorENS3_11ColumnMajorES4_DF16_DF16_fDF16_DF16_NS_16tensor_operation12element_wise11PassThroughES8_S8_LNS6_6device18GemmSpecializationE4ELi64ELi32ELi32ELi256ELi8ELi8ELi16ELi16ELi2ELi2ENS_8SequenceIJLi32ELi2ELi1EEEENSB_IJLi1ELi0ELi2EEEESD_Li2ELi8ELi8ELb0ELi0ESC_SD_SD_Li2ELi8ELi8ELb0ELi0ELi1ELi1ENSB_IJLi1ELi16ELi1ELi4EEEELi4ELNS_26BlockGemmPipelineSchedulerE1ELNS_24BlockGemmPipelineVersionE1EDF16_DF16_Lb0ELb0ELb0ELi0ELb0EEELb1ELNS_25InMemoryDataOperationEnumE0ELi2ELNS_10TailNumberE2EEEvNT_8ArgumentE.num_named_barrier, 0
	.set _ZN2ck27kernel_gemm_xdl_cshuffle_v3INS_28GridwiseGemm_xdl_cshuffle_v3INS_13tensor_layout4gemm8RowMajorENS3_11ColumnMajorES4_DF16_DF16_fDF16_DF16_NS_16tensor_operation12element_wise11PassThroughES8_S8_LNS6_6device18GemmSpecializationE4ELi64ELi32ELi32ELi256ELi8ELi8ELi16ELi16ELi2ELi2ENS_8SequenceIJLi32ELi2ELi1EEEENSB_IJLi1ELi0ELi2EEEESD_Li2ELi8ELi8ELb0ELi0ESC_SD_SD_Li2ELi8ELi8ELb0ELi0ELi1ELi1ENSB_IJLi1ELi16ELi1ELi4EEEELi4ELNS_26BlockGemmPipelineSchedulerE1ELNS_24BlockGemmPipelineVersionE1EDF16_DF16_Lb0ELb0ELb0ELi0ELb0EEELb1ELNS_25InMemoryDataOperationEnumE0ELi2ELNS_10TailNumberE2EEEvNT_8ArgumentE.private_seg_size, 492
	.set _ZN2ck27kernel_gemm_xdl_cshuffle_v3INS_28GridwiseGemm_xdl_cshuffle_v3INS_13tensor_layout4gemm8RowMajorENS3_11ColumnMajorES4_DF16_DF16_fDF16_DF16_NS_16tensor_operation12element_wise11PassThroughES8_S8_LNS6_6device18GemmSpecializationE4ELi64ELi32ELi32ELi256ELi8ELi8ELi16ELi16ELi2ELi2ENS_8SequenceIJLi32ELi2ELi1EEEENSB_IJLi1ELi0ELi2EEEESD_Li2ELi8ELi8ELb0ELi0ESC_SD_SD_Li2ELi8ELi8ELb0ELi0ELi1ELi1ENSB_IJLi1ELi16ELi1ELi4EEEELi4ELNS_26BlockGemmPipelineSchedulerE1ELNS_24BlockGemmPipelineVersionE1EDF16_DF16_Lb0ELb0ELb0ELi0ELb0EEELb1ELNS_25InMemoryDataOperationEnumE0ELi2ELNS_10TailNumberE2EEEvNT_8ArgumentE.uses_vcc, 1
	.set _ZN2ck27kernel_gemm_xdl_cshuffle_v3INS_28GridwiseGemm_xdl_cshuffle_v3INS_13tensor_layout4gemm8RowMajorENS3_11ColumnMajorES4_DF16_DF16_fDF16_DF16_NS_16tensor_operation12element_wise11PassThroughES8_S8_LNS6_6device18GemmSpecializationE4ELi64ELi32ELi32ELi256ELi8ELi8ELi16ELi16ELi2ELi2ENS_8SequenceIJLi32ELi2ELi1EEEENSB_IJLi1ELi0ELi2EEEESD_Li2ELi8ELi8ELb0ELi0ESC_SD_SD_Li2ELi8ELi8ELb0ELi0ELi1ELi1ENSB_IJLi1ELi16ELi1ELi4EEEELi4ELNS_26BlockGemmPipelineSchedulerE1ELNS_24BlockGemmPipelineVersionE1EDF16_DF16_Lb0ELb0ELb0ELi0ELb0EEELb1ELNS_25InMemoryDataOperationEnumE0ELi2ELNS_10TailNumberE2EEEvNT_8ArgumentE.uses_flat_scratch, 0
	.set _ZN2ck27kernel_gemm_xdl_cshuffle_v3INS_28GridwiseGemm_xdl_cshuffle_v3INS_13tensor_layout4gemm8RowMajorENS3_11ColumnMajorES4_DF16_DF16_fDF16_DF16_NS_16tensor_operation12element_wise11PassThroughES8_S8_LNS6_6device18GemmSpecializationE4ELi64ELi32ELi32ELi256ELi8ELi8ELi16ELi16ELi2ELi2ENS_8SequenceIJLi32ELi2ELi1EEEENSB_IJLi1ELi0ELi2EEEESD_Li2ELi8ELi8ELb0ELi0ESC_SD_SD_Li2ELi8ELi8ELb0ELi0ELi1ELi1ENSB_IJLi1ELi16ELi1ELi4EEEELi4ELNS_26BlockGemmPipelineSchedulerE1ELNS_24BlockGemmPipelineVersionE1EDF16_DF16_Lb0ELb0ELb0ELi0ELb0EEELb1ELNS_25InMemoryDataOperationEnumE0ELi2ELNS_10TailNumberE2EEEvNT_8ArgumentE.has_dyn_sized_stack, 0
	.set _ZN2ck27kernel_gemm_xdl_cshuffle_v3INS_28GridwiseGemm_xdl_cshuffle_v3INS_13tensor_layout4gemm8RowMajorENS3_11ColumnMajorES4_DF16_DF16_fDF16_DF16_NS_16tensor_operation12element_wise11PassThroughES8_S8_LNS6_6device18GemmSpecializationE4ELi64ELi32ELi32ELi256ELi8ELi8ELi16ELi16ELi2ELi2ENS_8SequenceIJLi32ELi2ELi1EEEENSB_IJLi1ELi0ELi2EEEESD_Li2ELi8ELi8ELb0ELi0ESC_SD_SD_Li2ELi8ELi8ELb0ELi0ELi1ELi1ENSB_IJLi1ELi16ELi1ELi4EEEELi4ELNS_26BlockGemmPipelineSchedulerE1ELNS_24BlockGemmPipelineVersionE1EDF16_DF16_Lb0ELb0ELb0ELi0ELb0EEELb1ELNS_25InMemoryDataOperationEnumE0ELi2ELNS_10TailNumberE2EEEvNT_8ArgumentE.has_recursion, 0
	.set _ZN2ck27kernel_gemm_xdl_cshuffle_v3INS_28GridwiseGemm_xdl_cshuffle_v3INS_13tensor_layout4gemm8RowMajorENS3_11ColumnMajorES4_DF16_DF16_fDF16_DF16_NS_16tensor_operation12element_wise11PassThroughES8_S8_LNS6_6device18GemmSpecializationE4ELi64ELi32ELi32ELi256ELi8ELi8ELi16ELi16ELi2ELi2ENS_8SequenceIJLi32ELi2ELi1EEEENSB_IJLi1ELi0ELi2EEEESD_Li2ELi8ELi8ELb0ELi0ESC_SD_SD_Li2ELi8ELi8ELb0ELi0ELi1ELi1ENSB_IJLi1ELi16ELi1ELi4EEEELi4ELNS_26BlockGemmPipelineSchedulerE1ELNS_24BlockGemmPipelineVersionE1EDF16_DF16_Lb0ELb0ELb0ELi0ELb0EEELb1ELNS_25InMemoryDataOperationEnumE0ELi2ELNS_10TailNumberE2EEEvNT_8ArgumentE.has_indirect_call, 0
	.section	.AMDGPU.csdata,"",@progbits
; Kernel info:
; codeLenInByte = 13216
; TotalNumSgprs: 101
; NumVgprs: 256
; NumAgprs: 0
; TotalNumVgprs: 256
; ScratchSize: 492
; MemoryBound: 0
; FloatMode: 240
; IeeeMode: 1
; LDSByteSize: 32768 bytes/workgroup (compile time only)
; SGPRBlocks: 12
; VGPRBlocks: 31
; NumSGPRsForWavesPerEU: 102
; NumVGPRsForWavesPerEU: 256
; AccumOffset: 256
; Occupancy: 2
; WaveLimiterHint : 0
; COMPUTE_PGM_RSRC2:SCRATCH_EN: 1
; COMPUTE_PGM_RSRC2:USER_SGPR: 2
; COMPUTE_PGM_RSRC2:TRAP_HANDLER: 0
; COMPUTE_PGM_RSRC2:TGID_X_EN: 1
; COMPUTE_PGM_RSRC2:TGID_Y_EN: 0
; COMPUTE_PGM_RSRC2:TGID_Z_EN: 1
; COMPUTE_PGM_RSRC2:TIDIG_COMP_CNT: 0
; COMPUTE_PGM_RSRC3_GFX90A:ACCUM_OFFSET: 63
; COMPUTE_PGM_RSRC3_GFX90A:TG_SPLIT: 0
	.section	.text._ZN2ck27kernel_gemm_xdl_cshuffle_v3INS_28GridwiseGemm_xdl_cshuffle_v3INS_13tensor_layout4gemm8RowMajorENS3_11ColumnMajorES4_DF16_DF16_fDF16_DF16_NS_16tensor_operation12element_wise11PassThroughES8_S8_LNS6_6device18GemmSpecializationE4ELi64ELi32ELi32ELi256ELi8ELi8ELi16ELi16ELi2ELi2ENS_8SequenceIJLi32ELi2ELi1EEEENSB_IJLi1ELi0ELi2EEEESD_Li2ELi8ELi8ELb0ELi0ESC_SD_SD_Li2ELi8ELi8ELb0ELi0ELi1ELi1ENSB_IJLi1ELi16ELi1ELi4EEEELi4ELNS_26BlockGemmPipelineSchedulerE1ELNS_24BlockGemmPipelineVersionE1EDF16_DF16_Lb0ELb0ELb0ELi0ELb0EEELb1ELNS_25InMemoryDataOperationEnumE0ELi2ELNS_10TailNumberE10EEEvNT_8ArgumentE,"axG",@progbits,_ZN2ck27kernel_gemm_xdl_cshuffle_v3INS_28GridwiseGemm_xdl_cshuffle_v3INS_13tensor_layout4gemm8RowMajorENS3_11ColumnMajorES4_DF16_DF16_fDF16_DF16_NS_16tensor_operation12element_wise11PassThroughES8_S8_LNS6_6device18GemmSpecializationE4ELi64ELi32ELi32ELi256ELi8ELi8ELi16ELi16ELi2ELi2ENS_8SequenceIJLi32ELi2ELi1EEEENSB_IJLi1ELi0ELi2EEEESD_Li2ELi8ELi8ELb0ELi0ESC_SD_SD_Li2ELi8ELi8ELb0ELi0ELi1ELi1ENSB_IJLi1ELi16ELi1ELi4EEEELi4ELNS_26BlockGemmPipelineSchedulerE1ELNS_24BlockGemmPipelineVersionE1EDF16_DF16_Lb0ELb0ELb0ELi0ELb0EEELb1ELNS_25InMemoryDataOperationEnumE0ELi2ELNS_10TailNumberE10EEEvNT_8ArgumentE,comdat
	.protected	_ZN2ck27kernel_gemm_xdl_cshuffle_v3INS_28GridwiseGemm_xdl_cshuffle_v3INS_13tensor_layout4gemm8RowMajorENS3_11ColumnMajorES4_DF16_DF16_fDF16_DF16_NS_16tensor_operation12element_wise11PassThroughES8_S8_LNS6_6device18GemmSpecializationE4ELi64ELi32ELi32ELi256ELi8ELi8ELi16ELi16ELi2ELi2ENS_8SequenceIJLi32ELi2ELi1EEEENSB_IJLi1ELi0ELi2EEEESD_Li2ELi8ELi8ELb0ELi0ESC_SD_SD_Li2ELi8ELi8ELb0ELi0ELi1ELi1ENSB_IJLi1ELi16ELi1ELi4EEEELi4ELNS_26BlockGemmPipelineSchedulerE1ELNS_24BlockGemmPipelineVersionE1EDF16_DF16_Lb0ELb0ELb0ELi0ELb0EEELb1ELNS_25InMemoryDataOperationEnumE0ELi2ELNS_10TailNumberE10EEEvNT_8ArgumentE ; -- Begin function _ZN2ck27kernel_gemm_xdl_cshuffle_v3INS_28GridwiseGemm_xdl_cshuffle_v3INS_13tensor_layout4gemm8RowMajorENS3_11ColumnMajorES4_DF16_DF16_fDF16_DF16_NS_16tensor_operation12element_wise11PassThroughES8_S8_LNS6_6device18GemmSpecializationE4ELi64ELi32ELi32ELi256ELi8ELi8ELi16ELi16ELi2ELi2ENS_8SequenceIJLi32ELi2ELi1EEEENSB_IJLi1ELi0ELi2EEEESD_Li2ELi8ELi8ELb0ELi0ESC_SD_SD_Li2ELi8ELi8ELb0ELi0ELi1ELi1ENSB_IJLi1ELi16ELi1ELi4EEEELi4ELNS_26BlockGemmPipelineSchedulerE1ELNS_24BlockGemmPipelineVersionE1EDF16_DF16_Lb0ELb0ELb0ELi0ELb0EEELb1ELNS_25InMemoryDataOperationEnumE0ELi2ELNS_10TailNumberE10EEEvNT_8ArgumentE
	.globl	_ZN2ck27kernel_gemm_xdl_cshuffle_v3INS_28GridwiseGemm_xdl_cshuffle_v3INS_13tensor_layout4gemm8RowMajorENS3_11ColumnMajorES4_DF16_DF16_fDF16_DF16_NS_16tensor_operation12element_wise11PassThroughES8_S8_LNS6_6device18GemmSpecializationE4ELi64ELi32ELi32ELi256ELi8ELi8ELi16ELi16ELi2ELi2ENS_8SequenceIJLi32ELi2ELi1EEEENSB_IJLi1ELi0ELi2EEEESD_Li2ELi8ELi8ELb0ELi0ESC_SD_SD_Li2ELi8ELi8ELb0ELi0ELi1ELi1ENSB_IJLi1ELi16ELi1ELi4EEEELi4ELNS_26BlockGemmPipelineSchedulerE1ELNS_24BlockGemmPipelineVersionE1EDF16_DF16_Lb0ELb0ELb0ELi0ELb0EEELb1ELNS_25InMemoryDataOperationEnumE0ELi2ELNS_10TailNumberE10EEEvNT_8ArgumentE
	.p2align	8
	.type	_ZN2ck27kernel_gemm_xdl_cshuffle_v3INS_28GridwiseGemm_xdl_cshuffle_v3INS_13tensor_layout4gemm8RowMajorENS3_11ColumnMajorES4_DF16_DF16_fDF16_DF16_NS_16tensor_operation12element_wise11PassThroughES8_S8_LNS6_6device18GemmSpecializationE4ELi64ELi32ELi32ELi256ELi8ELi8ELi16ELi16ELi2ELi2ENS_8SequenceIJLi32ELi2ELi1EEEENSB_IJLi1ELi0ELi2EEEESD_Li2ELi8ELi8ELb0ELi0ESC_SD_SD_Li2ELi8ELi8ELb0ELi0ELi1ELi1ENSB_IJLi1ELi16ELi1ELi4EEEELi4ELNS_26BlockGemmPipelineSchedulerE1ELNS_24BlockGemmPipelineVersionE1EDF16_DF16_Lb0ELb0ELb0ELi0ELb0EEELb1ELNS_25InMemoryDataOperationEnumE0ELi2ELNS_10TailNumberE10EEEvNT_8ArgumentE,@function
_ZN2ck27kernel_gemm_xdl_cshuffle_v3INS_28GridwiseGemm_xdl_cshuffle_v3INS_13tensor_layout4gemm8RowMajorENS3_11ColumnMajorES4_DF16_DF16_fDF16_DF16_NS_16tensor_operation12element_wise11PassThroughES8_S8_LNS6_6device18GemmSpecializationE4ELi64ELi32ELi32ELi256ELi8ELi8ELi16ELi16ELi2ELi2ENS_8SequenceIJLi32ELi2ELi1EEEENSB_IJLi1ELi0ELi2EEEESD_Li2ELi8ELi8ELb0ELi0ESC_SD_SD_Li2ELi8ELi8ELb0ELi0ELi1ELi1ENSB_IJLi1ELi16ELi1ELi4EEEELi4ELNS_26BlockGemmPipelineSchedulerE1ELNS_24BlockGemmPipelineVersionE1EDF16_DF16_Lb0ELb0ELb0ELi0ELb0EEELb1ELNS_25InMemoryDataOperationEnumE0ELi2ELNS_10TailNumberE10EEEvNT_8ArgumentE: ; @_ZN2ck27kernel_gemm_xdl_cshuffle_v3INS_28GridwiseGemm_xdl_cshuffle_v3INS_13tensor_layout4gemm8RowMajorENS3_11ColumnMajorES4_DF16_DF16_fDF16_DF16_NS_16tensor_operation12element_wise11PassThroughES8_S8_LNS6_6device18GemmSpecializationE4ELi64ELi32ELi32ELi256ELi8ELi8ELi16ELi16ELi2ELi2ENS_8SequenceIJLi32ELi2ELi1EEEENSB_IJLi1ELi0ELi2EEEESD_Li2ELi8ELi8ELb0ELi0ESC_SD_SD_Li2ELi8ELi8ELb0ELi0ELi1ELi1ENSB_IJLi1ELi16ELi1ELi4EEEELi4ELNS_26BlockGemmPipelineSchedulerE1ELNS_24BlockGemmPipelineVersionE1EDF16_DF16_Lb0ELb0ELb0ELi0ELb0EEELb1ELNS_25InMemoryDataOperationEnumE0ELi2ELNS_10TailNumberE10EEEvNT_8ArgumentE
; %bb.0:
	s_load_dwordx8 s[64:71], s[0:1], 0x10
	s_load_dwordx2 s[84:85], s[0:1], 0x60
	s_load_dword s9, s[0:1], 0x68
	s_load_dword s8, s[0:1], 0x3c
	s_load_dwordx4 s[4:7], s[0:1], 0x50
	s_waitcnt lgkmcnt(0)
	s_cmp_gt_i32 s70, 1
	s_cselect_b64 s[10:11], -1, 0
	s_bitcmp1_b32 s9, 0
	s_cselect_b64 s[12:13], -1, 0
	s_and_b64 s[10:11], s[10:11], s[12:13]
	v_mov_b32_e32 v169, v0
	s_andn2_b64 vcc, exec, s[10:11]
	s_mov_b64 s[86:87], 0
	s_cbranch_vccnz .LBB4_2
; %bb.1:
	s_mul_i32 s9, s64, s3
	s_mul_i32 s86, s9, s65
	s_ashr_i32 s87, s86, 31
.LBB4_2:
	s_load_dword s9, s[0:1], 0x34
	s_add_i32 s71, s64, -1
	s_cmp_lt_u32 s71, 32
	s_mov_b32 s88, 0
	s_cbranch_scc1 .LBB4_6
; %bb.3:
	s_add_i32 s0, s65, -1
	s_cmp_lt_u32 s0, 32
	s_mov_b32 s0, 0
	s_cbranch_scc1 .LBB4_10
; %bb.4:
	s_add_i32 s0, s64, 31
	s_ashr_i32 s1, s0, 31
	s_lshr_b32 s1, s1, 27
	s_add_i32 s0, s0, s1
	s_ashr_i32 s11, s0, 5
	s_add_i32 s0, s65, 31
	s_ashr_i32 s1, s0, 31
	s_lshr_b32 s1, s1, 27
	s_add_i32 s0, s0, s1
	s_ashr_i32 s10, s0, 5
	s_mul_i32 s0, s10, s11
	s_add_i32 s1, s0, 7
	s_ashr_i32 s12, s1, 31
	s_lshr_b32 s12, s12, 29
	s_add_i32 s1, s1, s12
	s_ashr_i32 s12, s1, 3
	s_and_b32 s1, s1, -8
	s_sub_i32 s13, s0, s1
	s_ashr_i32 s0, s2, 31
	s_lshr_b32 s0, s0, 29
	s_add_i32 s15, s2, s0
	s_and_b32 s0, s15, -8
	s_add_i32 s13, s13, 8
	s_sub_i32 s14, s2, s0
	s_cmp_gt_i32 s14, s13
	s_cbranch_scc1 .LBB4_7
; %bb.5:
	s_mul_i32 s2, s12, s14
	s_ashr_i32 s0, s15, 3
	s_cbranch_execz .LBB4_8
	s_branch .LBB4_9
.LBB4_6:
	s_mov_b32 s33, 0
	s_branch .LBB4_11
.LBB4_7:
                                        ; implicit-def: $sgpr2
	s_ashr_i32 s0, s15, 3
.LBB4_8:
	s_add_i32 s1, s12, -1
	s_mul_i32 s1, s1, s14
	s_add_i32 s2, s13, s1
.LBB4_9:
	s_abs_i32 s1, s10
	v_cvt_f32_u32_e32 v0, s1
	s_sub_i32 s13, 0, s1
	s_add_i32 s0, s2, s0
	s_abs_i32 s12, s0
	v_rcp_iflag_f32_e32 v0, v0
	s_xor_b32 s2, s0, s10
	s_ashr_i32 s2, s2, 31
	v_mul_f32_e32 v0, 0x4f7ffffe, v0
	v_cvt_u32_f32_e32 v0, v0
	s_nop 0
	v_readfirstlane_b32 s14, v0
	s_mul_i32 s13, s13, s14
	s_mul_hi_u32 s13, s14, s13
	s_add_i32 s14, s14, s13
	s_mul_hi_u32 s13, s12, s14
	s_mul_i32 s14, s13, s1
	s_sub_i32 s12, s12, s14
	s_add_i32 s15, s13, 1
	s_sub_i32 s14, s12, s1
	s_cmp_ge_u32 s12, s1
	s_cselect_b32 s13, s15, s13
	s_cselect_b32 s12, s14, s12
	s_add_i32 s14, s13, 1
	s_cmp_ge_u32 s12, s1
	s_cselect_b32 s1, s14, s13
	s_xor_b32 s1, s1, s2
	s_lshr_b32 s12, s11, 30
	s_sub_i32 s1, s1, s2
	s_add_i32 s12, s11, s12
	s_mul_i32 s2, s1, s10
	s_sub_i32 s0, s0, s2
	s_and_b32 s2, s12, -4
	s_sub_i32 s11, s11, s2
	s_cmp_ge_i32 s1, s2
	s_cselect_b32 s2, s11, 4
	s_abs_i32 s12, s2
	v_cvt_f32_u32_e32 v0, s12
	s_ashr_i32 s11, s1, 31
	s_lshr_b32 s11, s11, 30
	s_add_i32 s11, s1, s11
	v_rcp_iflag_f32_e32 v0, v0
	s_and_b32 s11, s11, -4
	s_sub_i32 s11, s1, s11
	s_sub_i32 s14, 0, s12
	v_mul_f32_e32 v0, 0x4f7ffffe, v0
	v_cvt_u32_f32_e32 v0, v0
	s_mul_i32 s10, s11, s10
	s_add_i32 s10, s10, s0
	s_abs_i32 s13, s10
	v_readfirstlane_b32 s15, v0
	s_mul_i32 s14, s14, s15
	s_mul_hi_u32 s14, s15, s14
	s_add_i32 s15, s15, s14
	s_mul_hi_u32 s14, s13, s15
	s_mul_i32 s15, s14, s12
	s_xor_b32 s0, s10, s2
	s_sub_i32 s13, s13, s15
	s_ashr_i32 s0, s0, 31
	s_add_i32 s15, s14, 1
	s_sub_i32 s16, s13, s12
	s_cmp_ge_u32 s13, s12
	s_cselect_b32 s14, s15, s14
	s_cselect_b32 s13, s16, s13
	s_add_i32 s15, s14, 1
	s_cmp_ge_u32 s13, s12
	s_cselect_b32 s12, s15, s14
	s_xor_b32 s12, s12, s0
	s_sub_i32 s0, s12, s0
	s_mul_i32 s2, s0, s2
	s_sub_i32 s2, s10, s2
	s_add_i32 s2, s2, s1
	s_sub_i32 s2, s2, s11
.LBB4_10:
	s_mov_b32 s33, s2
	s_mov_b32 s2, s0
.LBB4_11:
	s_waitcnt lgkmcnt(0)
	s_mul_i32 s0, s9, s3
	s_ashr_i32 s1, s0, 31
	s_lshl_b64 s[0:1], s[0:1], 1
	s_add_u32 s72, s4, s0
	s_addc_u32 s4, s5, s1
	s_add_u32 s80, s6, s0
	s_addc_u32 s5, s7, s1
	s_add_i32 s0, s65, 0x7fffffff
	s_mul_i32 s7, s0, s68
	s_add_i32 s0, s70, -1
	s_mul_i32 s1, s0, s9
	s_sub_i32 s1, s66, s1
	v_lshrrev_b32_e32 v75, 1, v169
	s_cmp_lt_u32 s3, s0
	v_and_b32_e32 v66, 31, v169
	v_and_b32_e32 v67, 16, v75
	s_cselect_b32 s3, s9, s1
	s_lshl_b32 s66, s2, 5
	v_lshl_or_b32 v136, s33, 5, v67
	v_lshlrev_b32_e32 v0, 3, v66
	v_mad_u64_u32 v[2:3], s[0:1], v136, s67, v[0:1]
	v_bitop3_b32 v68, v75, v66, 16 bitop3:0x6c
	v_lshlrev_b32_e32 v1, 8, v67
	v_or_b32_e32 v138, s66, v67
	v_lshl_or_b32 v137, v68, 3, v1
	v_mad_u64_u32 v[0:1], s[0:1], v138, s68, v[0:1]
	s_ashr_i32 s0, s8, 31
	s_mul_i32 s6, s71, s67
	v_lshlrev_b32_e32 v1, 2, v169
	s_lshr_b32 s0, s0, 27
	scratch_store_dword off, v1, off offset:492 ; 4-byte Folded Spill
	v_and_b32_e32 v1, 0xc0, v1
	s_add_i32 s8, s8, s0
	s_add_i32 s0, s3, s6
	scratch_store_dword off, v1, off offset:488 ; 4-byte Folded Spill
	v_lshrrev_b32_e32 v69, 3, v1
	s_lshl_b32 s74, s0, 1
	s_and_b32 s73, s4, 0xffff
	s_mov_b32 s75, 0x20000
	v_lshlrev_b32_e32 v1, 1, v2
	v_add_u32_e32 v2, s67, v2
	v_lshlrev_b32_e32 v3, 1, v2
	buffer_load_dwordx4 v[70:73], v1, s[72:75], 0 offen
	buffer_load_dwordx4 v[76:79], v3, s[72:75], 0 offen
	v_add_u32_e32 v2, s67, v2
	v_lshlrev_b32_e32 v3, 1, v2
	v_add_u32_e32 v2, s67, v2
	v_lshlrev_b32_e32 v4, 1, v2
	buffer_load_dwordx4 v[80:83], v3, s[72:75], 0 offen
	buffer_load_dwordx4 v[84:87], v4, s[72:75], 0 offen
	v_add_u32_e32 v2, s67, v2
	;; [unrolled: 6-line block ×3, first 2 shown]
	v_lshlrev_b32_e32 v3, 1, v2
	v_add_u32_e32 v2, s67, v2
	v_lshlrev_b32_e32 v4, 1, v2
	v_add_u32_e32 v2, s67, v2
	buffer_load_dwordx4 v[96:99], v3, s[72:75], 0 offen
	buffer_load_dwordx4 v[100:103], v4, s[72:75], 0 offen
	v_lshlrev_b32_e32 v3, 1, v2
	v_add_u32_e32 v2, s67, v2
	v_lshlrev_b32_e32 v4, 1, v2
	v_add_u32_e32 v2, s67, v2
	buffer_load_dwordx4 v[104:107], v3, s[72:75], 0 offen
	buffer_load_dwordx4 v[108:111], v4, s[72:75], 0 offen
	;; [unrolled: 6-line block ×3, first 2 shown]
	v_lshlrev_b32_e32 v3, 1, v2
	v_add_u32_e32 v2, s67, v2
	v_lshlrev_b32_e32 v4, 1, v2
	v_add_u32_e32 v2, s67, v2
	v_add_u32_e32 v153, s67, v2
	buffer_load_dwordx4 v[120:123], v3, s[72:75], 0 offen
	buffer_load_dwordx4 v[124:127], v4, s[72:75], 0 offen
	v_lshlrev_b32_e32 v3, 1, v2
	v_lshlrev_b32_e32 v2, 1, v153
	buffer_load_dwordx4 v[128:131], v3, s[72:75], 0 offen
	buffer_load_dwordx4 v[132:135], v2, s[72:75], 0 offen
	s_add_i32 s3, s3, s7
	v_lshlrev_b32_e32 v2, 1, v0
	v_add_u32_e32 v0, s68, v0
	s_lshl_b32 s82, s3, 1
	s_and_b32 s81, s5, 0xffff
	s_mov_b32 s83, s75
	v_lshlrev_b32_e32 v3, 1, v0
	v_add_u32_e32 v0, s68, v0
	buffer_load_dwordx4 v[62:65], v2, s[80:83], 0 offen
	buffer_load_dwordx4 v[54:57], v3, s[80:83], 0 offen
	v_lshlrev_b32_e32 v2, 1, v0
	v_add_u32_e32 v0, s68, v0
	v_lshlrev_b32_e32 v3, 1, v0
	v_add_u32_e32 v0, s68, v0
	buffer_load_dwordx4 v[58:61], v2, s[80:83], 0 offen
	buffer_load_dwordx4 v[46:49], v3, s[80:83], 0 offen
	v_lshlrev_b32_e32 v2, 1, v0
	v_add_u32_e32 v0, s68, v0
	;; [unrolled: 6-line block ×7, first 2 shown]
	v_lshlrev_b32_e32 v3, 1, v0
	buffer_load_dwordx4 v[10:13], v2, s[80:83], 0 offen
	s_nop 0
	buffer_load_dwordx4 v[2:5], v3, s[80:83], 0 offen
	v_or_b32_e32 v1, 2, v136
	v_cmp_gt_i32_e64 s[4:5], s64, v136
	v_cmp_gt_i32_e64 s[0:1], s64, v1
	v_lshlrev_b32_e32 v1, 1, v137
	s_waitcnt vmcnt(31)
	v_cndmask_b32_e64 v73, 0, v73, s[4:5]
	v_cndmask_b32_e64 v72, 0, v72, s[4:5]
	;; [unrolled: 1-line block ×4, first 2 shown]
	ds_write_b128 v1, v[70:73]
	v_bitop3_b32 v70, v67, v66, 1 bitop3:0x36
	v_bitop3_b32 v72, v67, v66, 2 bitop3:0x36
	v_sub_u32_e32 v71, v70, v68
	v_sub_u32_e32 v70, v72, v70
	v_or_b32_e32 v139, 1, v136
	v_lshlrev_b32_e32 v73, 3, v70
	v_or_b32_e32 v140, 3, v136
	v_or_b32_e32 v141, 4, v136
	v_or_b32_e32 v142, 5, v136
	v_or_b32_e32 v143, 6, v136
	v_or_b32_e32 v144, 7, v136
	v_or_b32_e32 v145, 8, v136
	v_or_b32_e32 v146, 9, v136
	v_or_b32_e32 v147, 10, v136
	v_or_b32_e32 v148, 11, v136
	v_or_b32_e32 v149, 12, v136
	v_or_b32_e32 v150, 13, v136
	v_or_b32_e32 v151, 14, v136
	v_or_b32_e32 v152, 15, v136
	v_cmp_gt_i32_e32 vcc, s64, v139
	scratch_store_dword off, v73, off offset:372 ; 4-byte Folded Spill
	v_add_u32_e32 v136, 0x100, v73
	v_bitop3_b32 v73, v67, v66, 3 bitop3:0x36
	s_waitcnt vmcnt(31)
	v_cndmask_b32_e32 v79, 0, v79, vcc
	v_cndmask_b32_e32 v78, 0, v78, vcc
	;; [unrolled: 1-line block ×4, first 2 shown]
	v_cmp_gt_i32_e64 s[2:3], s64, v140
	v_lshlrev_b32_e32 v140, 3, v71
	v_lshl_add_u32 v71, v71, 4, v1
	v_sub_u32_e32 v72, v73, v72
	ds_write_b128 v71, v[76:79] offset:512
	v_lshlrev_b32_e32 v76, 3, v72
	v_lshlrev_b32_e32 v70, 4, v70
	s_movk_i32 s92, 0x200
	scratch_store_dword off, v76, off offset:376 ; 4-byte Folded Spill
	v_add_u32_e32 v139, 0x100, v76
	v_bitop3_b32 v76, v67, v66, 4 bitop3:0x36
	v_add3_u32 v70, v71, s92, v70
	v_lshlrev_b32_e32 v72, 4, v72
	v_sub_u32_e32 v73, v76, v73
	s_waitcnt vmcnt(31)
	v_cndmask_b32_e64 v83, 0, v83, s[0:1]
	v_cndmask_b32_e64 v82, 0, v82, s[0:1]
	;; [unrolled: 1-line block ×4, first 2 shown]
	s_waitcnt vmcnt(30)
	v_cndmask_b32_e64 v87, 0, v87, s[2:3]
	v_cndmask_b32_e64 v86, 0, v86, s[2:3]
	;; [unrolled: 1-line block ×4, first 2 shown]
	v_add3_u32 v72, v70, s92, v72
	v_lshlrev_b32_e32 v77, 3, v73
	ds_write_b128 v70, v[80:83] offset:512
	ds_write_b128 v72, v[84:87] offset:512
	scratch_store_dword off, v77, off offset:380 ; 4-byte Folded Spill
	v_add_u32_e32 v87, 0x100, v77
	v_bitop3_b32 v77, v67, v66, 5 bitop3:0x36
	v_cmp_gt_i32_e64 s[6:7], s64, v141
	v_lshlrev_b32_e32 v73, 4, v73
	v_sub_u32_e32 v76, v77, v76
	s_waitcnt vmcnt(30)
	v_cndmask_b32_e64 v91, 0, v91, s[6:7]
	v_cndmask_b32_e64 v90, 0, v90, s[6:7]
	v_cndmask_b32_e64 v89, 0, v89, s[6:7]
	v_cndmask_b32_e64 v88, 0, v88, s[6:7]
	v_add3_u32 v73, v72, s92, v73
	v_lshlrev_b32_e32 v78, 3, v76
	ds_write_b128 v73, v[88:91] offset:512
	scratch_store_dword off, v78, off offset:384 ; 4-byte Folded Spill
	v_add_u32_e32 v88, 0x100, v78
	v_bitop3_b32 v78, v67, v66, 6 bitop3:0x36
	v_sub_u32_e32 v77, v78, v77
	v_lshlrev_b32_e32 v79, 3, v77
	scratch_store_dword off, v79, off offset:388 ; 4-byte Folded Spill
	v_add_u32_e32 v89, 0x100, v79
	v_bitop3_b32 v79, v67, v66, 7 bitop3:0x36
	v_sub_u32_e32 v78, v79, v78
	v_lshlrev_b32_e32 v80, 3, v78
	scratch_store_dword off, v80, off offset:392 ; 4-byte Folded Spill
	v_add_u32_e32 v90, 0x100, v80
	v_bitop3_b32 v80, v67, v66, 8 bitop3:0x36
	v_sub_u32_e32 v79, v80, v79
	v_lshlrev_b32_e32 v81, 3, v79
	scratch_store_dword off, v81, off offset:396 ; 4-byte Folded Spill
	v_add_u32_e32 v91, 0x100, v81
	v_bitop3_b32 v81, v67, v66, 9 bitop3:0x36
	s_ashr_i32 s93, s8, 5
	v_cmp_gt_i32_e64 s[8:9], s64, v142
	v_lshlrev_b32_e32 v76, 4, v76
	v_sub_u32_e32 v80, v81, v80
	s_waitcnt vmcnt(33)
	v_cndmask_b32_e64 v95, 0, v95, s[8:9]
	v_cndmask_b32_e64 v94, 0, v94, s[8:9]
	;; [unrolled: 1-line block ×4, first 2 shown]
	v_add3_u32 v76, v73, s92, v76
	v_lshlrev_b32_e32 v82, 3, v80
	ds_write_b128 v76, v[92:95] offset:512
	scratch_store_dword off, v82, off offset:400 ; 4-byte Folded Spill
	v_add_u32_e32 v92, 0x100, v82
	v_bitop3_b32 v82, v67, v66, 10 bitop3:0x36
	v_sub_u32_e32 v81, v82, v81
	v_lshlrev_b32_e32 v83, 3, v81
	scratch_store_dword off, v83, off offset:404 ; 4-byte Folded Spill
	v_add_u32_e32 v93, 0x100, v83
	v_bitop3_b32 v83, v67, v66, 11 bitop3:0x36
	v_sub_u32_e32 v82, v83, v82
	v_lshlrev_b32_e32 v77, 4, v77
	v_lshlrev_b32_e32 v84, 3, v82
	v_add3_u32 v77, v76, s92, v77
	v_lshlrev_b32_e32 v78, 4, v78
	scratch_store_dword off, v84, off offset:408 ; 4-byte Folded Spill
	v_add_u32_e32 v94, 0x100, v84
	v_bitop3_b32 v84, v67, v66, 12 bitop3:0x36
	v_add3_u32 v78, v77, s92, v78
	v_lshlrev_b32_e32 v79, 4, v79
	v_sub_u32_e32 v83, v84, v83
	v_add3_u32 v79, v78, s92, v79
	v_lshlrev_b32_e32 v80, 4, v80
	v_lshlrev_b32_e32 v85, 3, v83
	v_add3_u32 v80, v79, s92, v80
	v_lshlrev_b32_e32 v81, 4, v81
	scratch_store_dword off, v85, off offset:412 ; 4-byte Folded Spill
	v_add_u32_e32 v95, 0x100, v85
	v_bitop3_b32 v85, v67, v66, 13 bitop3:0x36
	v_cmp_gt_i32_e64 s[10:11], s64, v143
	v_cmp_gt_i32_e64 s[18:19], s64, v147
	v_add3_u32 v81, v80, s92, v81
	v_lshlrev_b32_e32 v82, 4, v82
	v_sub_u32_e32 v84, v85, v84
	v_bitop3_b32 v147, v67, v66, 14 bitop3:0x36
	s_waitcnt vmcnt(36)
	v_cndmask_b32_e64 v99, 0, v99, s[10:11]
	v_cndmask_b32_e64 v98, 0, v98, s[10:11]
	;; [unrolled: 1-line block ×4, first 2 shown]
	v_add3_u32 v82, v81, s92, v82
	v_lshlrev_b32_e32 v83, 4, v83
	v_lshlrev_b32_e32 v86, 3, v84
	v_sub_u32_e32 v85, v147, v85
	v_cmp_gt_i32_e64 s[12:13], s64, v144
	v_cmp_gt_i32_e64 s[14:15], s64, v145
	;; [unrolled: 1-line block ×6, first 2 shown]
	ds_write_b128 v77, v[96:99] offset:512
	v_add3_u32 v83, v82, s92, v83
	scratch_store_dword off, v86, off offset:416 ; 4-byte Folded Spill
	v_add_u32_e32 v96, 0x100, v86
	v_lshlrev_b32_e32 v84, 4, v84
	v_lshlrev_b32_e32 v86, 3, v85
	s_waitcnt vmcnt(36)
	v_cndmask_b32_e64 v103, 0, v103, s[12:13]
	v_cndmask_b32_e64 v102, 0, v102, s[12:13]
	v_cndmask_b32_e64 v101, 0, v101, s[12:13]
	v_cndmask_b32_e64 v100, 0, v100, s[12:13]
	s_waitcnt vmcnt(35)
	v_cndmask_b32_e64 v107, 0, v107, s[14:15]
	v_cndmask_b32_e64 v106, 0, v106, s[14:15]
	v_cndmask_b32_e64 v105, 0, v105, s[14:15]
	v_cndmask_b32_e64 v104, 0, v104, s[14:15]
	;; [unrolled: 5-line block ×7, first 2 shown]
	v_add3_u32 v84, v83, s92, v84
	scratch_store_dword off, v86, off offset:420 ; 4-byte Folded Spill
	v_add_u32_e32 v97, 0x100, v86
	v_add_u32_e32 v86, 0x100, v140
	ds_write_b128 v78, v[100:103] offset:512
	ds_write_b128 v79, v[104:107] offset:512
	;; [unrolled: 1-line block ×7, first 2 shown]
	scratch_store_dword off, v140, off offset:356 ; 4-byte Folded Spill
	scratch_store_dword off, v136, off offset:428 ; 4-byte Folded Spill
	;; [unrolled: 1-line block ×3, first 2 shown]
	v_add_u32_e32 v86, v86, v136
	v_add3_u32 v86, v86, v139, v87
	v_add3_u32 v86, v86, v88, v89
	;; [unrolled: 1-line block ×5, first 2 shown]
	v_or_b32_e32 v75, 15, v75
	v_add3_u32 v148, v86, v96, v97
	v_bitop3_b32 v75, v75, 31, v169 bitop3:0x48
	v_or_b32_e32 v168, 15, v138
	s_mul_i32 s70, s67, -15
	scratch_store_dword off, v139, off offset:496 ; 4-byte Folded Spill
	scratch_store_dword off, v87, off offset:432 ; 4-byte Folded Spill
	v_add_u32_e32 v86, v148, v137
	v_lshlrev_b32_e32 v85, 4, v85
	v_sub_u32_e32 v87, v75, v147
	v_sub_u32_e32 v75, v68, v75
	v_or_b32_e32 v154, 1, v138
	v_or_b32_e32 v155, 2, v138
	;; [unrolled: 1-line block ×14, first 2 shown]
	s_addk_i32 s70, 0x100
	v_cmp_gt_i32_e64 s[26:27], s64, v151
	v_cmp_gt_i32_e64 s[28:29], s64, v152
	v_add3_u32 v85, v84, s92, v85
	v_lshl_add_u32 v86, v87, 3, v86
	v_lshlrev_b32_e32 v87, 4, v87
	v_lshlrev_b32_e32 v75, 3, v75
	s_movk_i32 s30, 0xf200
	v_cmp_gt_i32_e64 s[38:39], s65, v138
	v_cmp_gt_i32_e64 s[62:63], s65, v168
	v_add_u32_e32 v153, s70, v153
	s_waitcnt vmcnt(35)
	v_cndmask_b32_e64 v131, 0, v131, s[26:27]
	v_cndmask_b32_e64 v130, 0, v130, s[26:27]
	v_cndmask_b32_e64 v129, 0, v129, s[26:27]
	v_cndmask_b32_e64 v128, 0, v128, s[26:27]
	s_waitcnt vmcnt(34)
	v_cndmask_b32_e64 v135, 0, v135, s[28:29]
	v_cndmask_b32_e64 v134, 0, v134, s[28:29]
	;; [unrolled: 1-line block ×4, first 2 shown]
	v_add3_u32 v87, v85, s92, v87
	v_add3_u32 v75, v86, v75, s30
	s_waitcnt vmcnt(33)
	v_cndmask_b32_e64 v65, 0, v65, s[38:39]
	v_cndmask_b32_e64 v64, 0, v64, s[38:39]
	;; [unrolled: 1-line block ×4, first 2 shown]
	v_cmp_gt_i32_e64 s[30:31], s65, v154
	v_cmp_gt_i32_e64 s[34:35], s65, v155
	;; [unrolled: 1-line block ×14, first 2 shown]
	s_waitcnt vmcnt(18)
	v_cndmask_b32_e64 v2, 0, v2, s[62:63]
	scratch_store_dword off, v88, off offset:436 ; 4-byte Folded Spill
	scratch_store_dword off, v89, off offset:440 ; 4-byte Folded Spill
	scratch_store_dword off, v90, off offset:444 ; 4-byte Folded Spill
	scratch_store_dword off, v91, off offset:448 ; 4-byte Folded Spill
	scratch_store_dword off, v92, off offset:452 ; 4-byte Folded Spill
	scratch_store_dword off, v93, off offset:456 ; 4-byte Folded Spill
	scratch_store_dword off, v94, off offset:460 ; 4-byte Folded Spill
	scratch_store_dword off, v95, off offset:464 ; 4-byte Folded Spill
	scratch_store_dword off, v96, off offset:468 ; 4-byte Folded Spill
	scratch_store_dword off, v97, off offset:472 ; 4-byte Folded Spill
	ds_write_b128 v85, v[128:131] offset:512
	scratch_store_dword off, v169, off offset:480 ; 4-byte Folded Spill
	ds_write_b128 v87, v[132:135] offset:512
	v_cndmask_b32_e64 v57, 0, v57, s[30:31]
	v_cndmask_b32_e64 v56, 0, v56, s[30:31]
	;; [unrolled: 1-line block ×59, first 2 shown]
	ds_write_b128 v1, v[62:65] offset:16384
	ds_write_b128 v71, v[54:57] offset:16896
	;; [unrolled: 1-line block ×16, first 2 shown]
	v_lshlrev_b32_e32 v1, 1, v153
	v_add_u32_e32 v2, s67, v153
	s_mul_i32 s91, s68, -15
	v_lshlrev_b32_e32 v3, 1, v2
	buffer_load_dwordx4 v[138:141], v1, s[72:75], 0 offen
	buffer_load_dwordx4 v[126:129], v3, s[72:75], 0 offen
	v_add_u32_e32 v1, s67, v2
	s_addk_i32 s91, 0x100
	v_lshlrev_b32_e32 v2, 1, v1
	v_add_u32_e32 v1, s67, v1
	v_add_u32_e32 v0, s91, v0
	v_lshlrev_b32_e32 v3, 1, v1
	buffer_load_dwordx4 v[114:117], v2, s[72:75], 0 offen
	buffer_load_dwordx4 v[102:105], v3, s[72:75], 0 offen
	v_lshlrev_b32_e32 v3, 1, v0
	v_add_u32_e32 v0, s68, v0
	v_lshlrev_b32_e32 v4, 1, v0
	buffer_load_dwordx4 v[22:25], v3, s[80:83], 0 offen
	s_nop 0
	buffer_load_dwordx4 v[4:7], v4, s[80:83], 0 offen
	v_add_u32_e32 v0, s68, v0
	v_lshlrev_b32_e32 v3, 1, v0
	v_add_u32_e32 v0, s68, v0
	v_add_u32_e32 v1, s67, v1
	v_lshlrev_b32_e32 v2, 1, v1
	v_add_u32_e32 v1, s67, v1
	v_and_b32_e32 v170, 15, v169
	v_bitop3_b32 v74, v169, v69, 15 bitop3:0x6c
	s_mov_b32 s89, s67
	s_mov_b32 s90, s68
	;; [unrolled: 1-line block ×6, first 2 shown]
	s_waitcnt vmcnt(0)
	scratch_store_dwordx4 off, v[4:7], off offset:88 ; 16-byte Folded Spill
	buffer_load_dwordx4 v[6:9], v3, s[80:83], 0 offen
	s_nop 0
	v_lshlrev_b32_e32 v4, 1, v0
	v_add_u32_e32 v0, s68, v0
	v_lshlrev_b32_e32 v3, 1, v0
	v_add_u32_e32 v0, s68, v0
	s_waitcnt vmcnt(0)
	scratch_store_dwordx4 off, v[6:9], off offset:56 ; 16-byte Folded Spill
	buffer_load_dwordx4 v[4:7], v4, s[80:83], 0 offen
	s_waitcnt vmcnt(0)
	scratch_store_dwordx4 off, v[4:7], off offset:40 ; 16-byte Folded Spill
	s_nop 1
	v_lshlrev_b32_e32 v4, 1, v1
	v_add_u32_e32 v1, s67, v1
	buffer_load_dwordx4 v[118:121], v2, s[72:75], 0 offen
	buffer_load_dwordx4 v[14:17], v4, s[72:75], 0 offen
	v_lshlrev_b32_e32 v4, 1, v1
	v_add_u32_e32 v1, s67, v1
	v_lshlrev_b32_e32 v6, 1, v1
	v_add_u32_e32 v1, s67, v1
	buffer_load_dwordx4 v[134:137], v4, s[72:75], 0 offen
	buffer_load_dwordx4 v[130:133], v6, s[72:75], 0 offen
	v_lshlrev_b32_e32 v6, 1, v1
	v_add_u32_e32 v1, s67, v1
	;; [unrolled: 6-line block ×3, first 2 shown]
	v_add_u32_e32 v2, s68, v0
	v_lshlrev_b32_e32 v10, 1, v1
	v_add_u32_e32 v1, s67, v1
	v_add_u32_e32 v5, s68, v2
	buffer_load_dwordx4 v[106:109], v8, s[72:75], 0 offen
	buffer_load_dwordx4 v[98:101], v10, s[72:75], 0 offen
	v_lshlrev_b32_e32 v10, 1, v1
	v_add_u32_e32 v1, s67, v1
	v_add_u32_e32 v4, s68, v5
	v_lshlrev_b32_e32 v12, 1, v1
	v_add_u32_e32 v7, s68, v4
	buffer_load_dwordx4 v[94:97], v10, s[72:75], 0 offen
	buffer_load_dwordx4 v[90:93], v12, s[72:75], 0 offen
	v_add_u32_e32 v12, s67, v1
	v_add_u32_e32 v6, s68, v7
	v_lshlrev_b32_e32 v13, 1, v12
	v_add_u32_e32 v146, s67, v12
	v_lshlrev_b32_e32 v0, 1, v0
	;; [unrolled: 2-line block ×3, first 2 shown]
	buffer_load_dwordx4 v[86:89], v13, s[72:75], 0 offen
	buffer_load_dwordx4 v[82:85], v12, s[72:75], 0 offen
	;; [unrolled: 1-line block ×4, first 2 shown]
	v_lshlrev_b32_e32 v0, 1, v2
	v_add_u32_e32 v8, s68, v9
	v_lshlrev_b32_e32 v2, 1, v5
	buffer_load_dwordx4 v[70:73], v0, s[80:83], 0 offen
	buffer_load_dwordx4 v[62:65], v2, s[80:83], 0 offen
	v_lshlrev_b32_e32 v0, 1, v4
	v_add_u32_e32 v11, s68, v8
	v_lshlrev_b32_e32 v2, 1, v7
	buffer_load_dwordx4 v[54:57], v0, s[80:83], 0 offen
	buffer_load_dwordx4 v[50:53], v2, s[80:83], 0 offen
	v_lshlrev_b32_e32 v0, 1, v6
	v_add_u32_e32 v10, s68, v11
	v_lshlrev_b32_e32 v2, 1, v9
	buffer_load_dwordx4 v[46:49], v0, s[80:83], 0 offen
	buffer_load_dwordx4 v[42:45], v2, s[80:83], 0 offen
	v_lshlrev_b32_e32 v0, 1, v8
	v_lshlrev_b32_e32 v2, 1, v11
	buffer_load_dwordx4 v[34:37], v0, s[80:83], 0 offen
	buffer_load_dwordx4 v[26:29], v2, s[80:83], 0 offen
	v_lshlrev_b32_e32 v0, 1, v10
	buffer_load_dwordx4 v[4:7], v0, s[80:83], 0 offen
	v_add_u32_e32 v1, s68, v10
	v_lshlrev_b32_e32 v2, 1, v1
	v_lshlrev_b32_e32 v0, 9, v170
	v_lshl_or_b32 v32, v74, 4, v0
	v_bitop3_b32 v0, v69, v170, 1 bitop3:0x36
	v_sub_u32_e32 v0, v0, v74
	v_lshlrev_b32_e32 v0, 4, v0
	v_add_u32_e32 v0, v32, v0
	scratch_store_dword off, v0, off offset:352 ; 4-byte Folded Spill
	v_bitop3_b32 v8, v69, v170, 16 bitop3:0x1e
	v_or_b32_e32 v9, 16, v170
	v_sub_u32_e32 v8, v8, v74
	scratch_store_dword off, v170, off offset:484 ; 4-byte Folded Spill
	v_bitop3_b32 v10, v69, v9, 1 bitop3:0x36
	v_lshlrev_b32_e32 v8, 4, v8
	v_sub_u32_e32 v10, v10, v74
	v_bitop3_b32 v11, v69, v9, 2 bitop3:0x36
	v_lshlrev_b32_e32 v10, 4, v10
	v_sub_u32_e32 v11, v11, v74
	;; [unrolled: 3-line block ×7, first 2 shown]
	v_lshlrev_b32_e32 v9, 4, v9
	s_waitcnt vmcnt(2)
	scratch_store_dwordx4 off, v[4:7], off offset:120 ; 16-byte Folded Spill
	buffer_load_dwordx4 v[2:5], v2, s[80:83], 0 offen
	s_nop 0
	v_bitop3_b32 v6, v69, v170, 6 bitop3:0x36
	v_sub_u32_e32 v6, v6, v74
	v_bitop3_b32 v7, v69, v170, 7 bitop3:0x36
	v_lshlrev_b32_e32 v6, 4, v6
	v_sub_u32_e32 v7, v7, v74
	v_lshlrev_b32_e32 v7, 4, v7
	s_add_i32 s80, s93, -2
	s_waitcnt vmcnt(0)
	scratch_store_dwordx4 off, v[2:5], off offset:72 ; 16-byte Folded Spill
	s_nop 1
	v_bitop3_b32 v2, v69, v170, 2 bitop3:0x36
	v_sub_u32_e32 v2, v2, v74
	v_bitop3_b32 v3, v69, v170, 3 bitop3:0x36
	v_lshlrev_b32_e32 v2, 4, v2
	v_sub_u32_e32 v3, v3, v74
	v_bitop3_b32 v4, v69, v170, 4 bitop3:0x36
	v_lshlrev_b32_e32 v3, 4, v3
	v_sub_u32_e32 v4, v4, v74
	v_bitop3_b32 v5, v69, v170, 5 bitop3:0x36
	v_add_u32_e32 v0, v32, v2
	v_lshlrev_b32_e32 v4, 4, v4
	v_sub_u32_e32 v5, v5, v74
	scratch_store_dword off, v0, off offset:348 ; 4-byte Folded Spill
	v_add_u32_e32 v0, v32, v3
	v_lshlrev_b32_e32 v5, 4, v5
	scratch_store_dword off, v0, off offset:344 ; 4-byte Folded Spill
	v_add_u32_e32 v0, v32, v4
	scratch_store_dword off, v0, off offset:340 ; 4-byte Folded Spill
	v_add_u32_e32 v0, v32, v5
	scratch_store_dword off, v0, off offset:336 ; 4-byte Folded Spill
	v_add_u32_e32 v0, v32, v6
	scratch_store_dword off, v0, off offset:4 ; 4-byte Folded Spill
	v_add_u32_e32 v0, v32, v7
	scratch_store_dword off, v0, off        ; 4-byte Folded Spill
	v_bitop3_b32 v0, v67, v66, 15 bitop3:0x36
	v_sub_u32_e32 v2, v0, v147
	v_lshlrev_b32_e32 v2, 3, v2
	scratch_store_dword off, v2, off offset:360 ; 4-byte Folded Spill
	v_add_u32_e32 v3, 0x100, v2
	v_sub_u32_e32 v0, v68, v0
	v_mov_b32_e32 v2, 0xfffff100
	v_lshl_add_u32 v0, v0, 3, v2
	scratch_store_dword off, v0, off offset:364 ; 4-byte Folded Spill
	scratch_store_dword off, v3, off offset:368 ; 4-byte Folded Spill
	v_add3_u32 v0, v148, v3, v0
	v_add_u32_e32 v0, v0, v0
	scratch_store_dword off, v0, off offset:424 ; 4-byte Folded Spill
	v_add_u32_e32 v0, v32, v8
	scratch_store_dword off, v0, off offset:36 ; 4-byte Folded Spill
	;; [unrolled: 2-line block ×6, first 2 shown]
	v_add_u32_e32 v0, v32, v30
	v_mov_b32_e32 v2, 0
	scratch_store_dword off, v0, off offset:16 ; 4-byte Folded Spill
	v_add_u32_e32 v0, v32, v31
	scratch_store_dword off, v0, off offset:12 ; 4-byte Folded Spill
	scratch_store_dword off, v32, off offset:332 ; 4-byte Folded Spill
	v_add_u32_e32 v0, v32, v9
	v_mov_b32_e32 v3, v2
	v_mov_b32_e32 v4, v2
	;; [unrolled: 1-line block ×11, first 2 shown]
	scratch_store_dword off, v0, off offset:8 ; 4-byte Folded Spill
	scratch_store_dwordx4 off, v[6:9], off offset:152 ; 16-byte Folded Spill
	scratch_store_dwordx4 off, v[6:9], off offset:136 ; 16-byte Folded Spill
	;; [unrolled: 1-line block ×3, first 2 shown]
.LBB4_12:                               ; =>This Inner Loop Header: Depth=1
	v_mov_b32_e32 v13, v75
	scratch_store_dword off, v13, off offset:168 ; 4-byte Folded Spill
	v_add_u32_e32 v142, s91, v1
	v_add_u32_e32 v12, s70, v146
	s_waitcnt lgkmcnt(0)
	; wave barrier
	scratch_load_dword v147, off, off offset:332 ; 4-byte Folded Reload
	scratch_load_dword v146, off, off offset:352 ; 4-byte Folded Reload
	;; [unrolled: 1-line block ×15, first 2 shown]
	scratch_load_dword v9, off, off         ; 4-byte Folded Reload
	s_waitcnt vmcnt(15)
	ds_read_b128 v[200:203], v147
	s_waitcnt vmcnt(14)
	ds_read_b128 v[204:207], v146
	;; [unrolled: 2-line block ×6, first 2 shown]
	s_waitcnt vmcnt(9)
	ds_read_b128 v[232:235], v7 offset:8192
	s_waitcnt vmcnt(8)
	ds_read_b128 v[236:239], v6 offset:8192
	s_waitcnt vmcnt(7)
	ds_read_b128 v[224:227], v10
	s_waitcnt vmcnt(6)
	ds_read_b128 v[240:243], v5 offset:8192
	s_waitcnt vmcnt(5)
	ds_read_b128 v[244:247], v3 offset:8192
	;; [unrolled: 2-line block ×5, first 2 shown]
	s_waitcnt vmcnt(0)
	ds_read_b128 v[228:231], v9
	ds_read_b128 v[152:155], v8 offset:8192
	ds_read_b128 v[156:159], v147 offset:16384
	;; [unrolled: 1-line block ×17, first 2 shown]
	; sched_barrier mask(0x00000000)
	; wave barrier
	; sched_barrier mask(0x00000000)
	s_waitcnt lgkmcnt(14)
	v_mfma_f32_16x16x32_f16 v[8:11], v[200:203], v[156:159], v[18:21]
	; sched_barrier mask(0x00000000)
	s_setprio 1
	; sched_barrier mask(0x00000000)
	s_nop 1
	scratch_load_dwordx4 v[18:21], off, off offset:136 ; 16-byte Folded Reload
	v_mfma_f32_16x16x32_f16 v[8:11], v[204:207], v[160:163], v[8:11]
	s_waitcnt lgkmcnt(13)
	v_mfma_f32_16x16x32_f16 v[8:11], v[208:211], v[182:185], v[8:11]
	s_waitcnt lgkmcnt(12)
	;; [unrolled: 2-line block ×6, first 2 shown]
	v_mfma_f32_16x16x32_f16 v[8:11], v[228:231], v[170:173], v[8:11]
	s_waitcnt vmcnt(0) lgkmcnt(7)
	v_mfma_f32_16x16x32_f16 v[200:203], v[200:203], v[174:177], v[18:21]
	s_nop 2
	scratch_load_dwordx4 v[18:21], off, off offset:152 ; 16-byte Folded Reload
	s_nop 1
	scratch_store_dwordx4 off, v[8:11], off offset:152 ; 16-byte Folded Spill
	s_waitcnt lgkmcnt(6)
	v_mfma_f32_16x16x32_f16 v[200:203], v[204:207], v[178:181], v[200:203]
	s_waitcnt vmcnt(1)
	v_mfma_f32_16x16x32_f16 v[156:159], v[232:235], v[156:159], v[18:21]
	s_nop 2
	scratch_load_dwordx4 v[18:21], off, off offset:104 ; 16-byte Folded Reload
	v_mfma_f32_16x16x32_f16 v[156:159], v[236:239], v[160:163], v[156:159]
	v_mfma_f32_16x16x32_f16 v[156:159], v[240:243], v[182:185], v[156:159]
	v_mfma_f32_16x16x32_f16 v[156:159], v[244:247], v[186:189], v[156:159]
	v_mfma_f32_16x16x32_f16 v[156:159], v[248:251], v[190:193], v[156:159]
	s_waitcnt vmcnt(0)
	v_mfma_f32_16x16x32_f16 v[174:177], v[232:235], v[174:177], v[18:21]
	v_mfma_f32_16x16x32_f16 v[160:163], v[236:239], v[178:181], v[174:177]
	s_waitcnt lgkmcnt(5)
	v_mfma_f32_16x16x32_f16 v[174:177], v[208:211], v[58:61], v[200:203]
	v_mfma_f32_16x16x32_f16 v[58:61], v[240:243], v[58:61], v[160:163]
	s_waitcnt lgkmcnt(4)
	v_mfma_f32_16x16x32_f16 v[160:163], v[212:215], v[66:69], v[174:177]
	v_mfma_f32_16x16x32_f16 v[58:61], v[244:247], v[66:69], v[58:61]
	s_waitcnt lgkmcnt(3)
	v_mfma_f32_16x16x32_f16 v[66:69], v[216:219], v[74:77], v[160:163]
	v_mfma_f32_16x16x32_f16 v[58:61], v[248:251], v[74:77], v[58:61]
	s_waitcnt lgkmcnt(2)
	v_mfma_f32_16x16x32_f16 v[66:69], v[220:223], v[30:33], v[66:69]
	v_mfma_f32_16x16x32_f16 v[74:77], v[252:255], v[194:197], v[156:159]
	;; [unrolled: 1-line block ×3, first 2 shown]
	s_waitcnt lgkmcnt(1)
	v_mfma_f32_16x16x32_f16 v[58:61], v[224:227], v[0:3], v[66:69]
	v_mfma_f32_16x16x32_f16 v[74:77], v[148:151], v[166:169], v[74:77]
	s_waitcnt lgkmcnt(0)
	v_mfma_f32_16x16x32_f16 v[8:11], v[228:231], v[4:7], v[58:61]
	v_mfma_f32_16x16x32_f16 v[0:3], v[148:151], v[0:3], v[30:33]
	s_nop 6
	scratch_store_dwordx4 off, v[8:11], off offset:104 ; 16-byte Folded Spill
	s_nop 1
	v_mfma_f32_16x16x32_f16 v[8:11], v[152:155], v[170:173], v[74:77]
	s_nop 7
	scratch_store_dwordx4 off, v[8:11], off offset:136 ; 16-byte Folded Spill
	; sched_barrier mask(0x00000000)
	s_waitcnt lgkmcnt(0)
	; wave barrier
	; sched_barrier mask(0x00000000)
	v_mfma_f32_16x16x32_f16 v[0:3], v[152:155], v[4:7], v[0:3]
	s_nop 7
	scratch_store_dwordx4 off, v[0:3], off offset:232 ; 16-byte Folded Spill
	; sched_barrier mask(0x00000000)
	s_setprio 0
	; sched_barrier mask(0x00000000)
	s_nop 0
	v_cndmask_b32_e64 v3, 0, v141, s[4:5]
	v_cndmask_b32_e64 v2, 0, v140, s[4:5]
	v_cndmask_b32_e64 v1, 0, v139, s[4:5]
	v_cndmask_b32_e64 v0, 0, v138, s[4:5]
	v_cndmask_b32_e64 v8, 0, v114, s[0:1]
	v_cndmask_b32_e64 v114, 0, v118, s[6:7]
	v_cndmask_b32_e64 v118, 0, v14, s[8:9]
	v_lshlrev_b32_e32 v14, 1, v13
	ds_write_b128 v14, v[0:3]
	scratch_load_dword v0, off, off offset:356 ; 4-byte Folded Reload
	scratch_load_dword v30, off, off offset:372 ; 4-byte Folded Reload
	scratch_load_dword v31, off, off offset:392 ; 4-byte Folded Reload
	v_cndmask_b32_e64 v11, 0, v117, s[0:1]
	v_cndmask_b32_e64 v10, 0, v116, s[0:1]
	;; [unrolled: 1-line block ×6, first 2 shown]
	scratch_load_dwordx4 v[16:19], off, off offset:120 ; 16-byte Folded Reload
	v_cndmask_b32_e32 v7, 0, v129, vcc
	v_cndmask_b32_e32 v6, 0, v128, vcc
	;; [unrolled: 1-line block ×4, first 2 shown]
	v_cndmask_b32_e64 v9, 0, v115, s[0:1]
	scratch_load_dword v60, off, off offset:412 ; 4-byte Folded Reload
	scratch_load_dword v61, off, off offset:416 ; 4-byte Folded Reload
	;; [unrolled: 1-line block ×3, first 2 shown]
	v_cndmask_b32_e64 v105, 0, v105, s[2:3]
	v_cndmask_b32_e64 v104, 0, v104, s[2:3]
	;; [unrolled: 1-line block ×57, first 2 shown]
	scratch_load_dword v32, off, off offset:396 ; 4-byte Folded Reload
	scratch_load_dword v33, off, off offset:400 ; 4-byte Folded Reload
	scratch_load_dword v58, off, off offset:404 ; 4-byte Folded Reload
	scratch_load_dword v59, off, off offset:408 ; 4-byte Folded Reload
	v_cndmask_b32_e64 v158, 0, v72, s[44:45]
	s_waitcnt vmcnt(10)
	v_lshlrev_b32_e32 v0, 1, v0
	scratch_store_dword off, v0, off offset:172 ; 4-byte Folded Spill
	v_add_u32_e32 v1, v14, v0
	s_waitcnt vmcnt(10)
	v_lshlrev_b32_e32 v0, 1, v30
	scratch_store_dword off, v0, off offset:176 ; 4-byte Folded Spill
	v_add3_u32 v0, v1, s92, v0
	ds_write_b128 v1, v[4:7] offset:512
	ds_write_b128 v0, v[8:11] offset:512
	scratch_load_dword v8, off, off offset:376 ; 4-byte Folded Reload
	scratch_load_dword v9, off, off offset:380 ; 4-byte Folded Reload
	;; [unrolled: 1-line block ×4, first 2 shown]
	v_mov_b32_e32 v13, v1
	scratch_load_dwordx4 v[4:7], off, off offset:88 ; 16-byte Folded Reload
	s_waitcnt vmcnt(14)
	v_cndmask_b32_e64 v193, 0, v19, s[60:61]
	scratch_store_dword off, v13, off offset:276 ; 4-byte Folded Spill
	v_cndmask_b32_e64 v192, 0, v18, s[60:61]
	v_cndmask_b32_e64 v191, 0, v17, s[60:61]
	;; [unrolled: 1-line block ×33, first 2 shown]
	scratch_load_dwordx4 v[16:19], off, off offset:72 ; 16-byte Folded Reload
	s_waitcnt vmcnt(6)
	v_lshlrev_b32_e32 v1, 1, v8
	scratch_store_dword off, v1, off offset:180 ; 4-byte Folded Spill
	v_add3_u32 v0, v0, s92, v1
	s_waitcnt vmcnt(6)
	v_lshlrev_b32_e32 v1, 1, v9
	ds_write_b128 v0, v[102:105] offset:512
	scratch_store_dword off, v1, off offset:184 ; 4-byte Folded Spill
	v_add3_u32 v0, v0, s92, v1
	s_waitcnt vmcnt(6)
	v_lshlrev_b32_e32 v1, 1, v10
	ds_write_b128 v0, v[114:117] offset:512
	;; [unrolled: 5-line block ×3, first 2 shown]
	scratch_store_dword off, v1, off offset:192 ; 4-byte Folded Spill
	v_add3_u32 v0, v0, s92, v1
	v_lshlrev_b32_e32 v1, 1, v31
	ds_write_b128 v0, v[126:129] offset:512
	scratch_store_dword off, v1, off offset:196 ; 4-byte Folded Spill
	v_add3_u32 v0, v0, s92, v1
	v_lshlrev_b32_e32 v1, 1, v32
	ds_write_b128 v0, v[130:133] offset:512
	;; [unrolled: 4-line block ×8, first 2 shown]
	scratch_store_dword off, v1, off offset:212 ; 4-byte Folded Spill
	v_add3_u32 v0, v0, s92, v1
	scratch_load_dword v1, off, off offset:360 ; 4-byte Folded Reload
	ds_write_b128 v0, v[86:89] offset:512
	s_waitcnt vmcnt(13)
	v_cndmask_b32_e64 v228, 0, v16, s[62:63]
	v_cndmask_b32_e64 v229, 0, v17, s[62:63]
	;; [unrolled: 1-line block ×4, first 2 shown]
	s_waitcnt vmcnt(0)
	v_lshlrev_b32_e32 v1, 1, v1
	v_add3_u32 v0, v0, s92, v1
	scratch_store_dword off, v1, off offset:216 ; 4-byte Folded Spill
	scratch_store_dword off, v0, off offset:248 ; 4-byte Folded Spill
	ds_write_b128 v0, v[82:85] offset:512
	v_cndmask_b32_e64 v1, 0, v23, s[38:39]
	v_cndmask_b32_e64 v0, 0, v22, s[38:39]
	scratch_load_dwordx4 v[22:25], off, off offset:56 ; 16-byte Folded Reload
	v_cndmask_b32_e64 v7, 0, v7, s[30:31]
	v_cndmask_b32_e64 v6, 0, v6, s[30:31]
	;; [unrolled: 1-line block ×4, first 2 shown]
	ds_write_b128 v14, v[0:3] offset:16384
	ds_write_b128 v13, v[4:7] offset:16896
	v_lshlrev_b32_e32 v0, 1, v12
	v_add_u32_e32 v1, s67, v12
	v_lshlrev_b32_e32 v2, 1, v1
	s_waitcnt vmcnt(0)
	v_cndmask_b32_e64 v129, 0, v25, s[34:35]
	v_cndmask_b32_e64 v128, 0, v24, s[34:35]
	;; [unrolled: 1-line block ×4, first 2 shown]
	scratch_load_dwordx4 v[22:25], off, off offset:40 ; 16-byte Folded Reload
	buffer_load_dwordx4 v[232:235], v0, s[72:75], 0 offen
	buffer_load_dwordx4 v[236:239], v2, s[72:75], 0 offen
	v_add_u32_e32 v0, s67, v1
	v_lshlrev_b32_e32 v1, 1, v0
	v_add_u32_e32 v0, s67, v0
	v_lshlrev_b32_e32 v2, 1, v0
	v_add_u32_e32 v0, s67, v0
	buffer_load_dwordx4 v[240:243], v1, s[72:75], 0 offen
	buffer_load_dwordx4 v[138:141], v2, s[72:75], 0 offen
	v_lshlrev_b32_e32 v1, 1, v0
	v_add_u32_e32 v0, s67, v0
	v_lshlrev_b32_e32 v2, 1, v0
	v_add_u32_e32 v0, s67, v0
	buffer_load_dwordx4 v[130:133], v1, s[72:75], 0 offen
	buffer_load_dwordx4 v[122:125], v2, s[72:75], 0 offen
	;; [unrolled: 6-line block ×6, first 2 shown]
	v_lshlrev_b32_e32 v1, 1, v0
	v_add_u32_e32 v0, s67, v0
	v_lshlrev_b32_e32 v2, 1, v0
	buffer_load_dwordx4 v[86:89], v1, s[72:75], 0 offen
	buffer_load_dwordx4 v[82:85], v2, s[72:75], 0 offen
	v_lshlrev_b32_e32 v1, 1, v142
	v_add_u32_e32 v2, s68, v142
	v_lshlrev_b32_e32 v3, 1, v2
	buffer_load_dwordx4 v[78:81], v1, s[76:79], 0 offen
	buffer_load_dwordx4 v[50:53], v3, s[76:79], 0 offen
	v_add_u32_e32 v1, s68, v2
	v_lshlrev_b32_e32 v2, 1, v1
	v_add_u32_e32 v1, s68, v1
	v_lshlrev_b32_e32 v3, 1, v1
	v_add_u32_e32 v1, s68, v1
	buffer_load_dwordx4 v[70:73], v2, s[76:79], 0 offen
	buffer_load_dwordx4 v[42:45], v3, s[76:79], 0 offen
	v_lshlrev_b32_e32 v2, 1, v1
	v_add_u32_e32 v1, s68, v1
	v_lshlrev_b32_e32 v3, 1, v1
	v_add_u32_e32 v1, s68, v1
	buffer_load_dwordx4 v[62:65], v2, s[76:79], 0 offen
	buffer_load_dwordx4 v[34:37], v3, s[76:79], 0 offen
	v_lshlrev_b32_e32 v2, 1, v1
	v_add_u32_e32 v1, s68, v1
	v_lshlrev_b32_e32 v3, 1, v1
	v_add_u32_e32 v1, s68, v1
	v_add_u32_e32 v0, s70, v0
	s_waitcnt vmcnt(22)
	v_cndmask_b32_e64 v137, 0, v25, s[36:37]
	v_cndmask_b32_e64 v136, 0, v24, s[36:37]
	;; [unrolled: 1-line block ×4, first 2 shown]
	buffer_load_dwordx4 v[54:57], v2, s[76:79], 0 offen
	buffer_load_dwordx4 v[22:25], v3, s[76:79], 0 offen
	v_lshlrev_b32_e32 v2, 1, v1
	v_add_u32_e32 v1, s68, v1
	v_lshlrev_b32_e32 v3, 1, v1
	buffer_load_dwordx4 v[46:49], v2, s[76:79], 0 offen
	s_nop 0
	buffer_load_dwordx4 v[2:5], v3, s[76:79], 0 offen
	v_add_u32_e32 v1, s68, v1
	s_waitcnt vmcnt(0)
	scratch_store_dwordx4 off, v[2:5], off offset:280 ; 16-byte Folded Spill
	s_nop 1
	v_lshlrev_b32_e32 v2, 1, v1
	v_add_u32_e32 v1, s68, v1
	v_lshlrev_b32_e32 v3, 1, v1
	buffer_load_dwordx4 v[38:41], v2, s[76:79], 0 offen
	s_nop 0
	buffer_load_dwordx4 v[2:5], v3, s[76:79], 0 offen
	v_add_u32_e32 v1, s68, v1
	s_waitcnt vmcnt(0)
	scratch_store_dwordx4 off, v[2:5], off offset:120 ; 16-byte Folded Spill
	s_nop 1
	v_lshlrev_b32_e32 v2, 1, v1
	v_add_u32_e32 v1, s68, v1
	v_lshlrev_b32_e32 v3, 1, v1
	buffer_load_dwordx4 v[26:29], v2, s[76:79], 0 offen
	s_nop 0
	buffer_load_dwordx4 v[2:5], v3, s[76:79], 0 offen
	v_add_u32_e32 v1, s68, v1
	scratch_store_dword off, v0, off offset:56 ; 4-byte Folded Spill
	s_waitcnt vmcnt(1)
	scratch_store_dwordx4 off, v[2:5], off offset:88 ; 16-byte Folded Spill
	s_nop 1
	v_lshlrev_b32_e32 v2, 1, v1
	buffer_load_dwordx4 v[4:7], v2, s[76:79], 0 offen
	v_add_u32_e32 v1, s68, v1
	v_lshlrev_b32_e32 v3, 1, v1
	v_add_u32_e32 v0, s91, v1
	scratch_store_dword off, v0, off offset:40 ; 4-byte Folded Spill
	s_waitcnt vmcnt(1)
	scratch_store_dwordx4 off, v[4:7], off offset:296 ; 16-byte Folded Spill
	buffer_load_dwordx4 v[2:5], v3, s[76:79], 0 offen
	s_waitcnt vmcnt(0)
	scratch_store_dwordx4 off, v[2:5], off offset:72 ; 16-byte Folded Spill
	s_nop 1
	v_add_u32_e32 v2, 0x100, v30
	v_lshl_add_u32 v164, v2, 1, v13
	v_add_u32_e32 v2, 0x100, v8
	v_lshl_add_u32 v15, v2, 1, v164
	v_add_u32_e32 v2, 0x100, v9
	v_lshl_add_u32 v14, v2, 1, v15
	v_add_u32_e32 v2, 0x100, v10
	v_lshl_add_u32 v3, v2, 1, v14
	v_add_u32_e32 v2, 0x100, v11
	v_lshl_add_u32 v143, v2, 1, v3
	v_add_u32_e32 v2, 0x100, v31
	v_lshl_add_u32 v165, v2, 1, v143
	v_add_u32_e32 v2, 0x100, v32
	v_lshl_add_u32 v13, v2, 1, v165
	v_add_u32_e32 v2, 0x100, v33
	v_lshl_add_u32 v226, v2, 1, v13
	v_add_u32_e32 v2, 0x100, v58
	v_lshl_add_u32 v16, v2, 1, v226
	v_add_u32_e32 v2, 0x100, v59
	v_lshl_add_u32 v17, v2, 1, v16
	v_add_u32_e32 v2, 0x100, v60
	v_lshl_add_u32 v12, v2, 1, v17
	v_add_u32_e32 v2, 0x100, v61
	v_lshl_add_u32 v227, v2, 1, v12
	v_add_u32_e32 v2, 0x100, v66
	v_lshl_add_u32 v142, v2, 1, v227
	scratch_load_dword v2, off, off offset:368 ; 4-byte Folded Reload
	ds_write_b128 v164, v[126:129] offset:16896
	ds_write_b128 v15, v[134:137] offset:16896
	;; [unrolled: 1-line block ×3, first 2 shown]
	scratch_store_dword off, v3, off offset:312 ; 4-byte Folded Spill
	ds_write_b128 v3, v[152:155] offset:16896
	ds_write_b128 v143, v[156:159] offset:16896
	;; [unrolled: 1-line block ×10, first 2 shown]
	s_waitcnt vmcnt(1)
	v_lshl_add_u32 v2, v2, 1, v142
	scratch_store_dword off, v2, off offset:316 ; 4-byte Folded Spill
	ds_write_b128 v2, v[228:231] offset:16896
	s_waitcnt lgkmcnt(0)
	; wave barrier
	ds_read_b128 v[134:137], v147
	ds_read_b128 v[148:151], v147 offset:16384
	ds_read_b128 v[152:155], v146
	ds_read_b128 v[156:159], v146 offset:16384
	ds_read_b128 v[160:163], v144
	ds_read_b128 v[166:169], v144 offset:16384
	ds_read_b128 v[170:173], v145
	ds_read_b128 v[174:177], v145 offset:16384
	ds_read_b128 v[178:181], v198
	ds_read_b128 v[182:185], v198 offset:16384
	ds_read_b128 v[186:189], v199
	ds_read_b128 v[190:193], v199 offset:16384
	scratch_load_dword v0, off, off offset:4 ; 4-byte Folded Reload
	s_waitcnt vmcnt(0)
	ds_read_b128 v[228:231], v0
	ds_read_b128 v[244:247], v0 offset:16384
	scratch_load_dword v0, off, off         ; 4-byte Folded Reload
	s_waitcnt vmcnt(0)
	ds_read_b128 v[248:251], v0
	ds_read_b128 v[252:255], v0 offset:16384
	scratch_load_dword v0, off, off offset:36 ; 4-byte Folded Reload
	s_waitcnt vmcnt(0)
	ds_read_b128 v[144:147], v0 offset:8192
	ds_read_b128 v[198:201], v0 offset:24576
	scratch_load_dword v0, off, off offset:32 ; 4-byte Folded Reload
	s_waitcnt vmcnt(0)
	ds_read_b128 v[202:205], v0 offset:8192
	;; [unrolled: 4-line block ×8, first 2 shown]
	ds_read_b128 v[4:7], v0 offset:24576
	; sched_barrier mask(0x00000000)
	; wave barrier
	; sched_barrier mask(0x00000000)
	scratch_load_dwordx4 v[0:3], off, off offset:152 ; 16-byte Folded Reload
	s_waitcnt vmcnt(0) lgkmcnt(14)
	v_mfma_f32_16x16x32_f16 v[0:3], v[134:137], v[148:151], v[0:3]
	; sched_barrier mask(0x00000000)
	s_setprio 1
	; sched_barrier mask(0x00000000)
	scratch_load_dwordx4 v[18:21], off, off offset:104 ; 16-byte Folded Reload
	v_mfma_f32_16x16x32_f16 v[0:3], v[152:155], v[156:159], v[0:3]
	v_mfma_f32_16x16x32_f16 v[0:3], v[160:163], v[166:169], v[0:3]
	;; [unrolled: 1-line block ×6, first 2 shown]
	s_waitcnt vmcnt(0)
	v_mfma_f32_16x16x32_f16 v[134:137], v[134:137], v[198:201], v[18:21]
	s_nop 2
	scratch_load_dwordx4 v[18:21], off, off offset:136 ; 16-byte Folded Reload
	s_waitcnt lgkmcnt(12)
	v_mfma_f32_16x16x32_f16 v[134:137], v[152:155], v[206:209], v[134:137]
	s_waitcnt lgkmcnt(10)
	v_mfma_f32_16x16x32_f16 v[134:137], v[160:163], v[214:217], v[134:137]
	;; [unrolled: 2-line block ×4, first 2 shown]
	v_mov_b32_e32 v181, v13
	s_waitcnt vmcnt(0)
	v_mfma_f32_16x16x32_f16 v[148:151], v[144:147], v[148:151], v[18:21]
	s_nop 2
	scratch_load_dwordx4 v[18:21], off, off offset:232 ; 16-byte Folded Reload
	v_mfma_f32_16x16x32_f16 v[148:151], v[202:205], v[156:159], v[148:151]
	v_mfma_f32_16x16x32_f16 v[148:151], v[210:213], v[166:169], v[148:151]
	v_mov_b32_e32 v169, v12
	v_mov_b32_e32 v168, v17
	;; [unrolled: 1-line block ×3, first 2 shown]
	v_mfma_f32_16x16x32_f16 v[148:151], v[218:221], v[174:177], v[148:151]
	v_mov_b32_e32 v176, v14
	v_mov_b32_e32 v175, v15
	s_waitcnt vmcnt(0)
	v_mfma_f32_16x16x32_f16 v[144:147], v[144:147], v[198:201], v[18:21]
	v_mfma_f32_16x16x32_f16 v[144:147], v[202:205], v[206:209], v[144:147]
	v_mfma_f32_16x16x32_f16 v[144:147], v[210:213], v[214:217], v[144:147]
	v_mfma_f32_16x16x32_f16 v[30:33], v[218:221], v[30:33], v[144:147]
	v_mfma_f32_16x16x32_f16 v[144:147], v[58:61], v[182:185], v[148:151]
	scratch_load_dword v185, off, off offset:264 ; 4-byte Folded Reload
	scratch_load_dword v166, off, off offset:272 ; 4-byte Folded Reload
	;; [unrolled: 1-line block ×3, first 2 shown]
	v_mfma_f32_16x16x32_f16 v[30:33], v[58:61], v[66:69], v[30:33]
	s_waitcnt lgkmcnt(4)
	v_mfma_f32_16x16x32_f16 v[58:61], v[186:189], v[222:225], v[134:137]
	v_mfma_f32_16x16x32_f16 v[66:69], v[74:77], v[190:193], v[144:147]
	;; [unrolled: 1-line block ×3, first 2 shown]
	s_waitcnt lgkmcnt(2)
	v_mfma_f32_16x16x32_f16 v[58:61], v[228:231], v[126:129], v[58:61]
	v_mfma_f32_16x16x32_f16 v[66:69], v[194:197], v[244:247], v[66:69]
	;; [unrolled: 1-line block ×4, first 2 shown]
	s_waitcnt lgkmcnt(0)
	v_mfma_f32_16x16x32_f16 v[0:3], v[248:251], v[4:7], v[58:61]
	s_nop 7
	scratch_store_dwordx4 off, v[0:3], off offset:136 ; 16-byte Folded Spill
	s_nop 1
	v_mfma_f32_16x16x32_f16 v[0:3], v[8:11], v[252:255], v[66:69]
	s_nop 7
	scratch_store_dwordx4 off, v[0:3], off offset:152 ; 16-byte Folded Spill
	; sched_barrier mask(0x00000000)
	s_waitcnt lgkmcnt(0)
	; wave barrier
	; sched_barrier mask(0x00000000)
	s_nop 0
	v_mfma_f32_16x16x32_f16 v[0:3], v[8:11], v[4:7], v[30:33]
	s_nop 7
	scratch_store_dwordx4 off, v[0:3], off offset:104 ; 16-byte Folded Spill
	; sched_barrier mask(0x00000000)
	s_setprio 0
	; sched_barrier mask(0x00000000)
	scratch_load_dword v12, off, off offset:364 ; 4-byte Folded Reload
	v_cndmask_b32_e64 v74, 0, v118, s[10:11]
	v_cndmask_b32_e64 v3, 0, v235, s[4:5]
	v_cndmask_b32_e64 v2, 0, v234, s[4:5]
	v_cndmask_b32_e64 v1, 0, v233, s[4:5]
	v_cndmask_b32_e64 v0, 0, v232, s[4:5]
	v_cndmask_b32_e64 v75, 0, v119, s[10:11]
	v_cndmask_b32_e32 v7, 0, v239, vcc
	v_cndmask_b32_e32 v6, 0, v238, vcc
	;; [unrolled: 1-line block ×4, first 2 shown]
	v_cndmask_b32_e64 v11, 0, v243, s[0:1]
	v_cndmask_b32_e64 v10, 0, v242, s[0:1]
	;; [unrolled: 1-line block ×69, first 2 shown]
	s_waitcnt vmcnt(0)
	v_lshlrev_b32_e32 v118, 1, v12
	scratch_load_dword v12, off, off offset:168 ; 4-byte Folded Reload
	scratch_load_dword v13, off, off offset:248 ; 4-byte Folded Reload
	v_cndmask_b32_e64 v38, 0, v38, s[52:53]
	v_cndmask_b32_e64 v29, 0, v29, s[56:57]
	;; [unrolled: 1-line block ×5, first 2 shown]
	s_add_i32 s88, s88, 2
	s_cmp_lt_i32 s88, s80
	scratch_load_dwordx4 v[14:17], off, off offset:280 ; 16-byte Folded Reload
	scratch_load_dword v178, off, off offset:312 ; 4-byte Folded Reload
	s_waitcnt vmcnt(2)
	v_add3_u32 v119, v13, s92, v118
	ds_write_b128 v119, v[0:3]
	scratch_load_dword v0, off, off offset:172 ; 4-byte Folded Reload
	scratch_load_dword v1, off, off offset:176 ; 4-byte Folded Reload
	scratch_load_dwordx4 v[18:21], off, off offset:120 ; 16-byte Folded Reload
	v_cndmask_b32_e64 v3, 0, v81, s[38:39]
	v_cndmask_b32_e64 v2, 0, v80, s[38:39]
	s_waitcnt vmcnt(4)
	v_cndmask_b32_e64 v17, 0, v17, s[50:51]
	v_cndmask_b32_e64 v16, 0, v16, s[50:51]
	;; [unrolled: 1-line block ×4, first 2 shown]
	s_waitcnt vmcnt(2)
	v_mov_b32_e32 v145, v0
	v_add_u32_e32 v0, v119, v0
	ds_write_b128 v0, v[4:7] offset:512
	s_waitcnt vmcnt(1)
	v_mov_b32_e32 v179, v1
	v_add3_u32 v0, v0, s92, v1
	scratch_load_dword v1, off, off offset:180 ; 4-byte Folded Reload
	ds_write_b128 v0, v[8:11] offset:512
	v_cndmask_b32_e64 v7, 0, v53, s[30:31]
	v_cndmask_b32_e64 v6, 0, v52, s[30:31]
	;; [unrolled: 1-line block ×8, first 2 shown]
	s_waitcnt vmcnt(1)
	v_cndmask_b32_e64 v57, 0, v21, s[54:55]
	v_cndmask_b32_e64 v56, 0, v20, s[54:55]
	;; [unrolled: 1-line block ×4, first 2 shown]
	scratch_load_dwordx4 v[18:21], off, off offset:88 ; 16-byte Folded Reload
	v_cndmask_b32_e64 v11, 0, v73, s[34:35]
	v_cndmask_b32_e64 v10, 0, v72, s[34:35]
	;; [unrolled: 1-line block ×4, first 2 shown]
	s_waitcnt vmcnt(1)
	v_mov_b32_e32 v177, v1
	v_add3_u32 v0, v0, s92, v1
	scratch_load_dword v1, off, off offset:184 ; 4-byte Folded Reload
	ds_write_b128 v0, v[30:33] offset:512
	v_cndmask_b32_e64 v33, 0, v45, s[36:37]
	v_cndmask_b32_e64 v32, 0, v44, s[36:37]
	;; [unrolled: 1-line block ×8, first 2 shown]
	scratch_load_dwordx4 v[62:65], off, off offset:72 ; 16-byte Folded Reload
	s_waitcnt vmcnt(1)
	v_mov_b32_e32 v162, v1
	v_add3_u32 v0, v0, s92, v1
	scratch_load_dword v1, off, off offset:188 ; 4-byte Folded Reload
	ds_write_b128 v0, v[58:61] offset:512
	v_cndmask_b32_e64 v61, 0, v21, s[58:59]
	v_cndmask_b32_e64 v60, 0, v20, s[58:59]
	;; [unrolled: 1-line block ×4, first 2 shown]
	scratch_load_dwordx4 v[18:21], off, off offset:296 ; 16-byte Folded Reload
	s_waitcnt vmcnt(2)
	v_cndmask_b32_e64 v65, 0, v65, s[62:63]
	v_cndmask_b32_e64 v64, 0, v64, s[62:63]
	;; [unrolled: 1-line block ×4, first 2 shown]
	s_waitcnt vmcnt(1)
	v_mov_b32_e32 v255, v1
	v_add3_u32 v0, v0, s92, v1
	scratch_load_dword v1, off, off offset:192 ; 4-byte Folded Reload
	ds_write_b128 v0, v[66:69] offset:512
	scratch_load_dword v66, off, off offset:316 ; 4-byte Folded Reload
	s_waitcnt vmcnt(2)
	v_cndmask_b32_e64 v21, 0, v21, s[60:61]
	v_cndmask_b32_e64 v20, 0, v20, s[60:61]
	;; [unrolled: 1-line block ×4, first 2 shown]
	s_waitcnt vmcnt(1)
	v_mov_b32_e32 v254, v1
	v_add3_u32 v0, v0, s92, v1
	scratch_load_dword v1, off, off offset:196 ; 4-byte Folded Reload
	ds_write_b128 v0, v[74:77] offset:512
	s_waitcnt vmcnt(1)
	v_add_u32_e32 v228, v66, v118
	s_waitcnt vmcnt(0)
	v_mov_b32_e32 v13, v1
	v_add3_u32 v0, v0, s92, v1
	scratch_load_dword v1, off, off offset:200 ; 4-byte Folded Reload
	ds_write_b128 v0, v[114:117] offset:512
	s_waitcnt vmcnt(0)
	v_mov_b32_e32 v163, v1
	v_add3_u32 v0, v0, s92, v1
	scratch_load_dword v1, off, off offset:204 ; 4-byte Folded Reload
	ds_write_b128 v0, v[110:113] offset:512
	;; [unrolled: 5-line block ×4, first 2 shown]
	v_add3_u32 v0, v0, s92, v185
	ds_write_b128 v0, v[98:101] offset:512
	v_add3_u32 v0, v0, s92, v180
	ds_write_b128 v0, v[94:97] offset:512
	;; [unrolled: 2-line block ×3, first 2 shown]
	s_waitcnt vmcnt(0)
	v_mov_b32_e32 v184, v1
	v_add3_u32 v0, v0, s92, v1
	scratch_load_dword v1, off, off offset:216 ; 4-byte Folded Reload
	ds_write_b128 v0, v[86:89] offset:512
	s_waitcnt vmcnt(0)
	v_add3_u32 v229, v0, s92, v1
	scratch_load_dword v0, off, off offset:424 ; 4-byte Folded Reload
	v_cndmask_b32_e64 v1, 0, v79, s[38:39]
	ds_write_b128 v229, v[82:85] offset:512
	s_waitcnt vmcnt(0)
	v_add_u32_e32 v75, v12, v0
	v_cndmask_b32_e64 v0, 0, v78, s[38:39]
	ds_write_b128 v228, v[0:3] offset:16896
	scratch_load_dword v0, off, off offset:276 ; 4-byte Folded Reload
	s_waitcnt vmcnt(0)
	ds_write_b128 v0, v[4:7] offset:16896
	ds_write_b128 v164, v[8:11] offset:16896
	;; [unrolled: 1-line block ×14, first 2 shown]
	scratch_load_dword v1, off, off offset:56 ; 4-byte Folded Reload
	scratch_load_dword v2, off, off offset:40 ; 4-byte Folded Reload
	v_mov_b32_e32 v144, v0
	v_mov_b64_e32 v[18:19], v[126:127]
	v_mov_b64_e32 v[20:21], v[128:129]
	ds_write_b128 v66, v[62:65] offset:16896
	s_waitcnt vmcnt(1)
	v_lshlrev_b32_e32 v0, 1, v1
	buffer_load_dwordx4 v[138:141], v0, s[72:75], 0 offen
	v_add_u32_e32 v0, s67, v1
	v_lshlrev_b32_e32 v1, 1, v0
	v_add_u32_e32 v0, s67, v0
	buffer_load_dwordx4 v[126:129], v1, s[72:75], 0 offen
	v_lshlrev_b32_e32 v1, 1, v0
	v_add_u32_e32 v0, s67, v0
	buffer_load_dwordx4 v[114:117], v1, s[72:75], 0 offen
	;; [unrolled: 3-line block ×3, first 2 shown]
	v_lshlrev_b32_e32 v1, 1, v0
	buffer_load_dwordx4 v[118:121], v1, s[72:75], 0 offen
	s_waitcnt vmcnt(5)
	v_lshlrev_b32_e32 v1, 1, v2
	buffer_load_dwordx4 v[22:25], v1, s[76:79], 0 offen
	v_add_u32_e32 v1, s68, v2
	v_lshlrev_b32_e32 v2, 1, v1
	buffer_load_dwordx4 v[2:5], v2, s[76:79], 0 offen
	v_add_u32_e32 v1, s68, v1
	v_add_u32_e32 v0, s89, v0
	s_waitcnt vmcnt(0)
	scratch_store_dwordx4 off, v[2:5], off offset:88 ; 16-byte Folded Spill
	s_nop 1
	v_lshlrev_b32_e32 v2, 1, v1
	buffer_load_dwordx4 v[2:5], v2, s[76:79], 0 offen
	v_add_u32_e32 v1, s68, v1
	s_waitcnt vmcnt(0)
	scratch_store_dwordx4 off, v[2:5], off offset:56 ; 16-byte Folded Spill
	s_nop 1
	v_lshlrev_b32_e32 v2, 1, v1
	buffer_load_dwordx4 v[2:5], v2, s[76:79], 0 offen
	;; [unrolled: 6-line block ×3, first 2 shown]
	v_add_u32_e32 v2, s90, v1
	v_lshlrev_b32_e32 v1, 1, v0
	v_add_u32_e32 v0, s89, v0
	buffer_load_dwordx4 v[14:17], v1, s[72:75], 0 offen
	v_lshlrev_b32_e32 v1, 1, v0
	v_add_u32_e32 v0, s89, v0
	buffer_load_dwordx4 v[134:137], v1, s[72:75], 0 offen
	;; [unrolled: 3-line block ×8, first 2 shown]
	v_lshlrev_b32_e32 v1, 1, v0
	v_add_u32_e32 v0, s89, v0
	v_add_u32_e32 v146, s89, v0
	buffer_load_dwordx4 v[90:93], v1, s[72:75], 0 offen
	v_lshlrev_b32_e32 v1, 1, v0
	v_lshlrev_b32_e32 v0, 1, v146
	v_add_u32_e32 v3, s90, v2
	buffer_load_dwordx4 v[86:89], v1, s[72:75], 0 offen
	buffer_load_dwordx4 v[82:85], v0, s[72:75], 0 offen
	v_lshlrev_b32_e32 v0, 1, v2
	v_add_u32_e32 v4, s90, v3
	buffer_load_dwordx4 v[78:81], v0, s[76:79], 0 offen
	v_lshlrev_b32_e32 v0, 1, v3
	v_add_u32_e32 v5, s90, v4
	;; [unrolled: 3-line block ×8, first 2 shown]
	buffer_load_dwordx4 v[34:37], v0, s[76:79], 0 offen
	v_lshlrev_b32_e32 v0, 1, v10
	buffer_load_dwordx4 v[26:29], v0, s[76:79], 0 offen
	v_lshlrev_b32_e32 v0, 1, v11
	buffer_load_dwordx4 v[2:5], v0, s[76:79], 0 offen
	v_add_u32_e32 v1, s90, v11
	v_lshlrev_b32_e32 v0, 1, v1
	s_waitcnt vmcnt(0)
	scratch_store_dwordx4 off, v[2:5], off offset:120 ; 16-byte Folded Spill
	buffer_load_dwordx4 v[2:5], v0, s[76:79], 0 offen
	s_waitcnt vmcnt(0)
	scratch_store_dwordx4 off, v[2:5], off offset:72 ; 16-byte Folded Spill
	s_cbranch_scc1 .LBB4_12
; %bb.13:
	scratch_load_dword v0, off, off offset:356 ; 4-byte Folded Reload
	v_mov_b32_e32 v174, v164
	v_mov_b32_e32 v164, v143
	v_mov_b32_e32 v143, v142
	scratch_load_dword v1, off, off offset:428 ; 4-byte Folded Reload
	scratch_load_dword v142, off, off offset:496 ; 4-byte Folded Reload
	s_lshl_b64 s[72:73], s[86:87], 1
	s_add_u32 s72, s84, s72
	s_mul_i32 s68, s71, s69
	s_mul_hi_u32 s70, 0, s69
	s_addc_u32 s67, s85, s73
	s_add_i32 s68, s70, s68
	s_waitcnt vmcnt(2)
	v_add_u32_e32 v0, v12, v0
	s_waitcnt vmcnt(1)
	v_mov_b32_e32 v31, v1
	s_waitcnt vmcnt(0)
	v_add3_u32 v0, v0, v1, v142
	scratch_load_dword v1, off, off offset:432 ; 4-byte Folded Reload
	scratch_load_dword v2, off, off offset:436 ; 4-byte Folded Reload
	s_waitcnt vmcnt(1)
	v_mov_b32_e32 v11, v1
	s_waitcnt vmcnt(0)
	v_add3_u32 v0, v0, v1, v2
	scratch_load_dword v9, off, off offset:440 ; 4-byte Folded Reload
	scratch_load_dword v1, off, off offset:444 ; 4-byte Folded Reload
	;; [unrolled: 1-line block ×8, first 2 shown]
	v_mov_b32_e32 v30, v2
	s_waitcnt vmcnt(6)
	v_add3_u32 v0, v0, v9, v1
	v_mov_b32_e32 v10, v1
	scratch_load_dword v2, off, off offset:472 ; 4-byte Folded Reload
	scratch_load_dword v1, off, off offset:368 ; 4-byte Folded Reload
	;; [unrolled: 1-line block ×4, first 2 shown]
	s_waitcnt vmcnt(8)
	v_add3_u32 v0, v0, v7, v8
	s_waitcnt vmcnt(6)
	v_add3_u32 v0, v0, v5, v6
	;; [unrolled: 2-line block ×5, first 2 shown]
	v_add3_u32 v0, v0, v31, v142
	v_add3_u32 v0, v0, v11, v30
	;; [unrolled: 1-line block ×7, first 2 shown]
	scratch_store_dword off, v0, off offset:168 ; 4-byte Folded Spill
	s_waitcnt lgkmcnt(0)
	; wave barrier
	scratch_load_dword v0, off, off offset:332 ; 4-byte Folded Reload
	s_waitcnt vmcnt(0)
	ds_read_b128 v[4:7], v0
	ds_read_b128 v[8:11], v0 offset:16384
	scratch_load_dword v0, off, off offset:352 ; 4-byte Folded Reload
	s_waitcnt vmcnt(0)
	ds_read_b128 v[58:61], v0
	ds_read_b128 v[66:69], v0 offset:16384
	;; [unrolled: 4-line block ×6, first 2 shown]
	s_waitcnt lgkmcnt(1)
	scratch_store_dwordx4 off, v[30:33], off offset:296 ; 16-byte Folded Spill
	s_waitcnt lgkmcnt(0)
	scratch_store_dwordx4 off, v[0:3], off offset:316 ; 16-byte Folded Spill
	scratch_load_dword v0, off, off offset:4 ; 4-byte Folded Reload
	s_waitcnt vmcnt(0)
	ds_read_b128 v[30:33], v0
	ds_read_b128 v[0:3], v0 offset:16384
	s_waitcnt lgkmcnt(1)
	scratch_store_dwordx4 off, v[30:33], off offset:248 ; 16-byte Folded Spill
	s_waitcnt lgkmcnt(0)
	scratch_store_dwordx4 off, v[0:3], off offset:280 ; 16-byte Folded Spill
	scratch_load_dword v0, off, off         ; 4-byte Folded Reload
	s_waitcnt vmcnt(0)
	ds_read_b128 v[30:33], v0
	ds_read_b128 v[0:3], v0 offset:16384
	s_waitcnt lgkmcnt(1)
	scratch_store_dwordx4 off, v[30:33], off offset:216 ; 16-byte Folded Spill
	s_waitcnt lgkmcnt(0)
	scratch_store_dwordx4 off, v[0:3], off offset:232 ; 16-byte Folded Spill
	scratch_load_dword v0, off, off offset:36 ; 4-byte Folded Reload
	s_waitcnt vmcnt(0)
	ds_read_b128 v[186:189], v0 offset:8192
	ds_read_b128 v[190:193], v0 offset:24576
	scratch_load_dword v0, off, off offset:32 ; 4-byte Folded Reload
	s_waitcnt vmcnt(0)
	ds_read_b128 v[194:197], v0 offset:8192
	ds_read_b128 v[198:201], v0 offset:24576
	;; [unrolled: 4-line block ×8, first 2 shown]
	; sched_barrier mask(0x00000000)
	; wave barrier
	; sched_barrier mask(0x00000000)
	v_mfma_f32_16x16x32_f16 v[30:33], v[4:7], v[8:11], v[18:21]
	; sched_barrier mask(0x00000000)
	s_setprio 1
	; sched_barrier mask(0x00000000)
	s_nop 1
	scratch_load_dwordx4 v[18:21], off, off offset:152 ; 16-byte Folded Reload
	scratch_load_dwordx4 v[0:3], off, off offset:136 ; 16-byte Folded Reload
	s_waitcnt vmcnt(1) lgkmcnt(14)
	v_mfma_f32_16x16x32_f16 v[8:11], v[186:189], v[8:11], v[18:21]
	s_nop 2
	scratch_load_dwordx4 v[18:21], off, off offset:104 ; 16-byte Folded Reload
	s_waitcnt vmcnt(1)
	v_mfma_f32_16x16x32_f16 v[0:3], v[4:7], v[190:193], v[0:3]
	v_mfma_f32_16x16x32_f16 v[4:7], v[58:61], v[66:69], v[30:33]
	s_waitcnt lgkmcnt(12)
	v_mfma_f32_16x16x32_f16 v[0:3], v[58:61], v[198:201], v[0:3]
	v_mfma_f32_16x16x32_f16 v[8:11], v[194:197], v[66:69], v[8:11]
	v_mfma_f32_16x16x32_f16 v[4:7], v[74:77], v[146:149], v[4:7]
	s_waitcnt lgkmcnt(10)
	v_mfma_f32_16x16x32_f16 v[0:3], v[74:77], v[206:209], v[0:3]
	;; [unrolled: 4-line block ×4, first 2 shown]
	v_mfma_f32_16x16x32_f16 v[8:11], v[218:221], v[170:173], v[8:11]
	s_waitcnt vmcnt(0)
	v_mfma_f32_16x16x32_f16 v[186:189], v[186:189], v[190:193], v[18:21]
	s_nop 2
	scratch_load_dwordx4 v[18:21], off, off offset:316 ; 16-byte Folded Reload
	scratch_load_dwordx4 v[58:61], off, off offset:296 ; 16-byte Folded Reload
	v_mfma_f32_16x16x32_f16 v[30:33], v[194:197], v[198:201], v[186:189]
	v_mfma_f32_16x16x32_f16 v[30:33], v[202:205], v[206:209], v[30:33]
	;; [unrolled: 1-line block ×4, first 2 shown]
	s_waitcnt lgkmcnt(4)
	v_mfma_f32_16x16x32_f16 v[30:33], v[230:233], v[234:237], v[30:33]
	s_waitcnt lgkmcnt(2)
	v_mfma_f32_16x16x32_f16 v[30:33], v[238:241], v[242:245], v[30:33]
	s_waitcnt vmcnt(1)
	v_mfma_f32_16x16x32_f16 v[8:11], v[230:233], v[18:21], v[8:11]
	s_waitcnt vmcnt(0)
	v_mfma_f32_16x16x32_f16 v[4:7], v[58:61], v[18:21], v[4:7]
	v_mfma_f32_16x16x32_f16 v[0:3], v[58:61], v[234:237], v[0:3]
	scratch_load_dwordx4 v[18:21], off, off offset:248 ; 16-byte Folded Reload
	scratch_load_dwordx4 v[58:61], off, off offset:280 ; 16-byte Folded Reload
	s_waitcnt vmcnt(1)
	v_mfma_f32_16x16x32_f16 v[0:3], v[18:21], v[242:245], v[0:3]
	s_waitcnt vmcnt(0)
	v_mfma_f32_16x16x32_f16 v[4:7], v[18:21], v[58:61], v[4:7]
	v_mfma_f32_16x16x32_f16 v[58:61], v[238:241], v[58:61], v[8:11]
	s_nop 2
	scratch_load_dwordx4 v[8:11], off, off offset:216 ; 16-byte Folded Reload
	scratch_load_dwordx4 v[18:21], off, off offset:232 ; 16-byte Folded Reload
	s_waitcnt vmcnt(0)
	v_mfma_f32_16x16x32_f16 v[146:149], v[8:11], v[18:21], v[4:7]
	s_waitcnt lgkmcnt(0)
	v_mfma_f32_16x16x32_f16 v[2:5], v[8:11], v[250:253], v[0:3]
	v_mfma_f32_16x16x32_f16 v[6:9], v[246:249], v[18:21], v[58:61]
	; sched_barrier mask(0x00000000)
	s_waitcnt lgkmcnt(0)
	; wave barrier
	; sched_barrier mask(0x00000000)
	v_mfma_f32_16x16x32_f16 v[30:33], v[246:249], v[250:253], v[30:33]
	; sched_barrier mask(0x00000000)
	s_setprio 0
	; sched_barrier mask(0x00000000)
	v_cndmask_b32_e64 v61, 0, v141, s[4:5]
	v_cndmask_b32_e64 v60, 0, v140, s[4:5]
	;; [unrolled: 1-line block ×4, first 2 shown]
	v_lshl_add_u32 v0, v12, 1, v229
	ds_write_b128 v0, v[58:61] offset:512
	scratch_load_dword v1, off, off offset:168 ; 4-byte Folded Reload
	scratch_load_dword v10, off, off offset:476 ; 4-byte Folded Reload
	v_cndmask_b32_e64 v77, 0, v117, s[0:1]
	v_cndmask_b32_e64 v76, 0, v116, s[0:1]
	;; [unrolled: 1-line block ×4, first 2 shown]
	s_movk_i32 s0, 0x200
	v_cndmask_b32_e32 v69, 0, v129, vcc
	v_cndmask_b32_e32 v68, 0, v128, vcc
	;; [unrolled: 1-line block ×4, first 2 shown]
	v_add3_u32 v0, v0, s0, v145
	ds_write_b128 v0, v[66:69] offset:512
	v_add3_u32 v0, v0, s0, v179
	v_cndmask_b32_e64 v105, 0, v105, s[2:3]
	v_cndmask_b32_e64 v104, 0, v104, s[2:3]
	;; [unrolled: 1-line block ×4, first 2 shown]
	ds_write_b128 v0, v[74:77] offset:512
	v_add3_u32 v0, v0, s0, v177
	v_cndmask_b32_e64 v117, 0, v121, s[6:7]
	v_cndmask_b32_e64 v116, 0, v120, s[6:7]
	;; [unrolled: 1-line block ×4, first 2 shown]
	ds_write_b128 v0, v[102:105] offset:512
	v_add3_u32 v0, v0, s0, v162
	ds_write_b128 v0, v[114:117] offset:512
	v_cndmask_b32_e64 v121, 0, v17, s[8:9]
	v_cndmask_b32_e64 v120, 0, v16, s[8:9]
	;; [unrolled: 1-line block ×4, first 2 shown]
	v_add3_u32 v0, v0, s0, v255
	v_cndmask_b32_e64 v129, 0, v137, s[10:11]
	v_cndmask_b32_e64 v128, 0, v136, s[10:11]
	;; [unrolled: 1-line block ×49, first 2 shown]
	s_waitcnt vmcnt(0)
	v_add3_u32 v1, v1, v12, v10
	scratch_load_dword v10, off, off offset:428 ; 4-byte Folded Reload
	v_cndmask_b32_e64 v76, 0, v80, s[42:43]
	v_cndmask_b32_e64 v75, 0, v79, s[42:43]
	;; [unrolled: 1-line block ×35, first 2 shown]
	s_waitcnt vmcnt(0)
	v_add3_u32 v1, v1, v10, v142
	scratch_load_dword v10, off, off offset:432 ; 4-byte Folded Reload
	scratch_load_dword v11, off, off offset:436 ; 4-byte Folded Reload
	ds_write_b128 v0, v[118:121] offset:512
	v_add3_u32 v0, v0, s0, v254
	ds_write_b128 v0, v[126:129] offset:512
	v_add3_u32 v0, v0, s0, v13
	s_waitcnt vmcnt(0)
	v_add3_u32 v1, v1, v10, v11
	scratch_load_dword v10, off, off offset:440 ; 4-byte Folded Reload
	scratch_load_dword v11, off, off offset:444 ; 4-byte Folded Reload
	ds_write_b128 v0, v[130:133] offset:512
	v_add3_u32 v0, v0, s0, v163
	ds_write_b128 v0, v[122:125] offset:512
	v_add3_u32 v0, v0, s0, v183
	;; [unrolled: 8-line block ×4, first 2 shown]
	s_waitcnt vmcnt(0)
	v_add3_u32 v1, v1, v11, v10
	scratch_load_dword v10, off, off offset:468 ; 4-byte Folded Reload
	scratch_load_dword v11, off, off offset:464 ; 4-byte Folded Reload
	ds_write_b128 v0, v[90:93] offset:512
	v_add3_u32 v0, v0, s0, v184
	ds_write_b128 v0, v[86:89] offset:512
	scratch_load_dword v0, off, off offset:472 ; 4-byte Folded Reload
	s_waitcnt vmcnt(1)
	v_add3_u32 v1, v1, v11, v10
	scratch_load_dwordx4 v[10:13], off, off offset:88 ; 16-byte Folded Reload
	s_waitcnt vmcnt(0)
	v_cndmask_b32_e64 v17, 0, v13, s[30:31]
	v_cndmask_b32_e64 v16, 0, v12, s[30:31]
	;; [unrolled: 1-line block ×4, first 2 shown]
	scratch_load_dwordx4 v[10:13], off, off offset:56 ; 16-byte Folded Reload
	v_add_lshl_u32 v0, v1, v0, 1
	scratch_load_dword v1, off, off offset:360 ; 4-byte Folded Reload
	s_waitcnt vmcnt(1)
	v_cndmask_b32_e64 v61, 0, v13, s[34:35]
	v_cndmask_b32_e64 v60, 0, v12, s[34:35]
	;; [unrolled: 1-line block ×4, first 2 shown]
	scratch_load_dwordx4 v[10:13], off, off offset:40 ; 16-byte Folded Reload
	s_waitcnt vmcnt(1)
	v_lshl_add_u32 v0, v1, 1, v0
	ds_write_b128 v0, v[82:85] offset:1024
	s_waitcnt vmcnt(0)
	v_cndmask_b32_e64 v69, 0, v13, s[36:37]
	v_cndmask_b32_e64 v68, 0, v12, s[36:37]
	;; [unrolled: 1-line block ×4, first 2 shown]
	scratch_load_dwordx4 v[10:13], off, off offset:120 ; 16-byte Folded Reload
	s_waitcnt vmcnt(0)
	v_cndmask_b32_e64 v21, 0, v13, s[60:61]
	v_cndmask_b32_e64 v20, 0, v12, s[60:61]
	;; [unrolled: 1-line block ×4, first 2 shown]
	scratch_load_dwordx4 v[10:13], off, off offset:72 ; 16-byte Folded Reload
	s_waitcnt vmcnt(0)
	v_cndmask_b32_e64 v81, 0, v13, s[62:63]
	v_cndmask_b32_e64 v80, 0, v12, s[62:63]
	;; [unrolled: 1-line block ×4, first 2 shown]
	ds_write_b128 v228, v[22:25] offset:16896
	ds_write_b128 v144, v[14:17] offset:16896
	;; [unrolled: 1-line block ×16, first 2 shown]
	s_waitcnt lgkmcnt(0)
	; wave barrier
	scratch_load_dword v0, off, off offset:332 ; 4-byte Folded Reload
	s_waitcnt vmcnt(0)
	ds_read_b128 v[14:17], v0
	ds_read_b128 v[18:21], v0 offset:16384
	scratch_load_dword v0, off, off offset:352 ; 4-byte Folded Reload
	s_waitcnt vmcnt(0)
	ds_read_b128 v[22:25], v0
	ds_read_b128 v[26:29], v0 offset:16384
	;; [unrolled: 4-line block ×7, first 2 shown]
	scratch_load_dword v0, off, off         ; 4-byte Folded Reload
	s_waitcnt vmcnt(0)
	ds_read_b128 v[74:77], v0
	ds_read_b128 v[78:81], v0 offset:16384
	scratch_load_dword v0, off, off offset:36 ; 4-byte Folded Reload
	s_waitcnt vmcnt(0)
	ds_read_b128 v[82:85], v0 offset:8192
	ds_read_b128 v[86:89], v0 offset:24576
	scratch_load_dword v0, off, off offset:32 ; 4-byte Folded Reload
	s_waitcnt vmcnt(0)
	ds_read_b128 v[90:93], v0 offset:8192
	;; [unrolled: 4-line block ×8, first 2 shown]
	ds_read_b128 v[142:145], v0 offset:24576
	; sched_barrier mask(0x00000000)
	; wave barrier
	; sched_barrier mask(0x00000000)
	s_waitcnt lgkmcnt(14)
	v_mfma_f32_16x16x32_f16 v[10:13], v[14:17], v[18:21], v[146:149]
	; sched_barrier mask(0x00000000)
	s_setprio 1
	; sched_barrier mask(0x00000000)
	v_mfma_f32_16x16x32_f16 v[0:3], v[14:17], v[86:89], v[2:5]
	v_mfma_f32_16x16x32_f16 v[4:7], v[82:85], v[18:21], v[6:9]
	v_mfma_f32_16x16x32_f16 v[14:17], v[82:85], v[86:89], v[30:33]
	v_mfma_f32_16x16x32_f16 v[8:11], v[22:25], v[26:29], v[10:13]
	s_waitcnt lgkmcnt(12)
	v_mfma_f32_16x16x32_f16 v[0:3], v[22:25], v[94:97], v[0:3]
	v_mfma_f32_16x16x32_f16 v[4:7], v[90:93], v[26:29], v[4:7]
	v_mfma_f32_16x16x32_f16 v[12:15], v[90:93], v[94:97], v[14:17]
	v_mfma_f32_16x16x32_f16 v[8:11], v[34:37], v[38:41], v[8:11]
	s_waitcnt lgkmcnt(10)
	;; [unrolled: 5-line block ×7, first 2 shown]
	v_mfma_f32_16x16x32_f16 v[0:3], v[74:77], v[142:145], v[0:3]
	v_mfma_f32_16x16x32_f16 v[4:7], v[138:141], v[78:81], v[4:7]
	; sched_barrier mask(0x00000000)
	s_waitcnt lgkmcnt(0)
	; wave barrier
	; sched_barrier mask(0x00000000)
	v_mfma_f32_16x16x32_f16 v[12:15], v[138:141], v[142:145], v[12:15]
	; sched_barrier mask(0x00000000)
	s_setprio 0
	; sched_barrier mask(0x00000000)
	scratch_load_dword v16, off, off offset:480 ; 4-byte Folded Reload
	s_nop 0
	v_cvt_f16_f32_e32 v8, v8
	v_cvt_f16_f32_e32 v9, v9
	;; [unrolled: 1-line block ×4, first 2 shown]
	s_add_i32 s2, s65, s68
	v_cvt_f16_f32_e32 v0, v0
	s_lshl_b32 s74, s2, 1
	v_cvt_f16_f32_e32 v1, v1
	v_cvt_f16_f32_e32 v2, v2
	s_and_b32 s73, s67, 0xffff
	s_mov_b32 s75, 0x20000
	v_cvt_f16_f32_e32 v3, v3
	s_lshl_b32 s4, s69, 4
	s_waitcnt vmcnt(0)
	v_lshrrev_b32_e32 v17, 2, v16
	scratch_load_dword v16, off, off offset:492 ; 4-byte Folded Reload
	v_lshl_or_b32 v21, s33, 5, v17
	s_waitcnt lgkmcnt(0)
	; wave barrier
	scratch_load_dword v22, off, off offset:488 ; 4-byte Folded Reload
	s_waitcnt vmcnt(1)
	v_and_b32_e32 v20, 12, v16
	v_or_b32_e32 v16, s66, v20
	v_mad_u64_u32 v[18:19], s[0:1], v21, s69, v[16:17]
	scratch_load_dword v19, off, off offset:484 ; 4-byte Folded Reload
	v_cmp_gt_i32_e32 vcc, s65, v16
	v_cmp_gt_i32_e64 s[0:1], s64, v21
	s_and_b64 s[2:3], s[0:1], vcc
	s_waitcnt vmcnt(0)
	v_lshlrev_b32_e32 v19, 1, v19
	v_lshl_add_u32 v19, v22, 1, v19
	ds_write_b16 v19, v8
	ds_write_b16 v19, v9 offset:32
	ds_write_b16 v19, v10 offset:64
	;; [unrolled: 1-line block ×3, first 2 shown]
	v_lshlrev_b32_e32 v8, 1, v20
	v_lshl_or_b32 v10, v17, 5, v8
	s_waitcnt lgkmcnt(0)
	; wave barrier
	ds_read_b64 v[8:9], v10
	v_bfrev_b32_e32 v11, 1
	v_cndmask_b32_e64 v17, v11, 0, s[2:3]
	v_lshl_add_u32 v17, v18, 1, v17
	s_waitcnt lgkmcnt(0)
	buffer_store_dwordx2 v[8:9], v17, s[72:75], 0 offen
	v_or_b32_e32 v8, 16, v16
	s_waitcnt lgkmcnt(0)
	; wave barrier
	ds_write_b16 v19, v0
	ds_write_b16 v19, v1 offset:32
	ds_write_b16 v19, v2 offset:64
	;; [unrolled: 1-line block ×3, first 2 shown]
	s_waitcnt lgkmcnt(0)
	; wave barrier
	ds_read_b64 v[0:1], v10
	v_cmp_gt_i32_e64 s[2:3], s65, v8
	s_and_b64 s[0:1], s[0:1], s[2:3]
	v_add_u32_e32 v9, 16, v18
	v_cndmask_b32_e64 v2, v11, 0, s[0:1]
	v_lshl_add_u32 v2, v9, 1, v2
	s_waitcnt lgkmcnt(0)
	buffer_store_dwordx2 v[0:1], v2, s[72:75], 0 offen
	v_cvt_f16_f32_e32 v0, v12
	v_cvt_f16_f32_e32 v1, v13
	;; [unrolled: 1-line block ×3, first 2 shown]
	v_add_u32_e32 v3, s4, v9
	v_cvt_f16_f32_e32 v9, v15
	v_or_b32_e32 v2, 16, v21
	s_waitcnt lgkmcnt(0)
	; wave barrier
	ds_write_b16 v19, v0
	ds_write_b16 v19, v1 offset:32
	ds_write_b16 v19, v8 offset:64
	;; [unrolled: 1-line block ×3, first 2 shown]
	s_waitcnt lgkmcnt(0)
	; wave barrier
	ds_read_b64 v[0:1], v10
	v_cmp_gt_i32_e64 s[0:1], s64, v2
	s_and_b64 s[2:3], s[0:1], s[2:3]
	v_cndmask_b32_e64 v2, v11, 0, s[2:3]
	v_lshl_add_u32 v2, v3, 1, v2
	s_waitcnt lgkmcnt(0)
	buffer_store_dwordx2 v[0:1], v2, s[72:75], 0 offen
	v_cvt_f16_f32_e32 v0, v4
	v_cvt_f16_f32_e32 v1, v5
	;; [unrolled: 1-line block ×4, first 2 shown]
	s_waitcnt lgkmcnt(0)
	; wave barrier
	ds_write_b16 v19, v0
	ds_write_b16 v19, v1 offset:32
	ds_write_b16 v19, v2 offset:64
	;; [unrolled: 1-line block ×3, first 2 shown]
	s_waitcnt lgkmcnt(0)
	; wave barrier
	ds_read_b64 v[0:1], v10
	s_and_b64 s[0:1], vcc, s[0:1]
	v_add_u32_e32 v2, s4, v18
	v_cndmask_b32_e64 v3, v11, 0, s[0:1]
	v_lshl_add_u32 v2, v2, 1, v3
	s_waitcnt lgkmcnt(0)
	buffer_store_dwordx2 v[0:1], v2, s[72:75], 0 offen
	s_endpgm
	.section	.rodata,"a",@progbits
	.p2align	6, 0x0
	.amdhsa_kernel _ZN2ck27kernel_gemm_xdl_cshuffle_v3INS_28GridwiseGemm_xdl_cshuffle_v3INS_13tensor_layout4gemm8RowMajorENS3_11ColumnMajorES4_DF16_DF16_fDF16_DF16_NS_16tensor_operation12element_wise11PassThroughES8_S8_LNS6_6device18GemmSpecializationE4ELi64ELi32ELi32ELi256ELi8ELi8ELi16ELi16ELi2ELi2ENS_8SequenceIJLi32ELi2ELi1EEEENSB_IJLi1ELi0ELi2EEEESD_Li2ELi8ELi8ELb0ELi0ESC_SD_SD_Li2ELi8ELi8ELb0ELi0ELi1ELi1ENSB_IJLi1ELi16ELi1ELi4EEEELi4ELNS_26BlockGemmPipelineSchedulerE1ELNS_24BlockGemmPipelineVersionE1EDF16_DF16_Lb0ELb0ELb0ELi0ELb0EEELb1ELNS_25InMemoryDataOperationEnumE0ELi2ELNS_10TailNumberE10EEEvNT_8ArgumentE
		.amdhsa_group_segment_fixed_size 32768
		.amdhsa_private_segment_fixed_size 504
		.amdhsa_kernarg_size 112
		.amdhsa_user_sgpr_count 2
		.amdhsa_user_sgpr_dispatch_ptr 0
		.amdhsa_user_sgpr_queue_ptr 0
		.amdhsa_user_sgpr_kernarg_segment_ptr 1
		.amdhsa_user_sgpr_dispatch_id 0
		.amdhsa_user_sgpr_kernarg_preload_length 0
		.amdhsa_user_sgpr_kernarg_preload_offset 0
		.amdhsa_user_sgpr_private_segment_size 0
		.amdhsa_uses_dynamic_stack 0
		.amdhsa_enable_private_segment 1
		.amdhsa_system_sgpr_workgroup_id_x 1
		.amdhsa_system_sgpr_workgroup_id_y 0
		.amdhsa_system_sgpr_workgroup_id_z 1
		.amdhsa_system_sgpr_workgroup_info 0
		.amdhsa_system_vgpr_workitem_id 0
		.amdhsa_next_free_vgpr 256
		.amdhsa_next_free_sgpr 96
		.amdhsa_accum_offset 256
		.amdhsa_reserve_vcc 1
		.amdhsa_float_round_mode_32 0
		.amdhsa_float_round_mode_16_64 0
		.amdhsa_float_denorm_mode_32 3
		.amdhsa_float_denorm_mode_16_64 3
		.amdhsa_dx10_clamp 1
		.amdhsa_ieee_mode 1
		.amdhsa_fp16_overflow 0
		.amdhsa_tg_split 0
		.amdhsa_exception_fp_ieee_invalid_op 0
		.amdhsa_exception_fp_denorm_src 0
		.amdhsa_exception_fp_ieee_div_zero 0
		.amdhsa_exception_fp_ieee_overflow 0
		.amdhsa_exception_fp_ieee_underflow 0
		.amdhsa_exception_fp_ieee_inexact 0
		.amdhsa_exception_int_div_zero 0
	.end_amdhsa_kernel
	.section	.text._ZN2ck27kernel_gemm_xdl_cshuffle_v3INS_28GridwiseGemm_xdl_cshuffle_v3INS_13tensor_layout4gemm8RowMajorENS3_11ColumnMajorES4_DF16_DF16_fDF16_DF16_NS_16tensor_operation12element_wise11PassThroughES8_S8_LNS6_6device18GemmSpecializationE4ELi64ELi32ELi32ELi256ELi8ELi8ELi16ELi16ELi2ELi2ENS_8SequenceIJLi32ELi2ELi1EEEENSB_IJLi1ELi0ELi2EEEESD_Li2ELi8ELi8ELb0ELi0ESC_SD_SD_Li2ELi8ELi8ELb0ELi0ELi1ELi1ENSB_IJLi1ELi16ELi1ELi4EEEELi4ELNS_26BlockGemmPipelineSchedulerE1ELNS_24BlockGemmPipelineVersionE1EDF16_DF16_Lb0ELb0ELb0ELi0ELb0EEELb1ELNS_25InMemoryDataOperationEnumE0ELi2ELNS_10TailNumberE10EEEvNT_8ArgumentE,"axG",@progbits,_ZN2ck27kernel_gemm_xdl_cshuffle_v3INS_28GridwiseGemm_xdl_cshuffle_v3INS_13tensor_layout4gemm8RowMajorENS3_11ColumnMajorES4_DF16_DF16_fDF16_DF16_NS_16tensor_operation12element_wise11PassThroughES8_S8_LNS6_6device18GemmSpecializationE4ELi64ELi32ELi32ELi256ELi8ELi8ELi16ELi16ELi2ELi2ENS_8SequenceIJLi32ELi2ELi1EEEENSB_IJLi1ELi0ELi2EEEESD_Li2ELi8ELi8ELb0ELi0ESC_SD_SD_Li2ELi8ELi8ELb0ELi0ELi1ELi1ENSB_IJLi1ELi16ELi1ELi4EEEELi4ELNS_26BlockGemmPipelineSchedulerE1ELNS_24BlockGemmPipelineVersionE1EDF16_DF16_Lb0ELb0ELb0ELi0ELb0EEELb1ELNS_25InMemoryDataOperationEnumE0ELi2ELNS_10TailNumberE10EEEvNT_8ArgumentE,comdat
.Lfunc_end4:
	.size	_ZN2ck27kernel_gemm_xdl_cshuffle_v3INS_28GridwiseGemm_xdl_cshuffle_v3INS_13tensor_layout4gemm8RowMajorENS3_11ColumnMajorES4_DF16_DF16_fDF16_DF16_NS_16tensor_operation12element_wise11PassThroughES8_S8_LNS6_6device18GemmSpecializationE4ELi64ELi32ELi32ELi256ELi8ELi8ELi16ELi16ELi2ELi2ENS_8SequenceIJLi32ELi2ELi1EEEENSB_IJLi1ELi0ELi2EEEESD_Li2ELi8ELi8ELb0ELi0ESC_SD_SD_Li2ELi8ELi8ELb0ELi0ELi1ELi1ENSB_IJLi1ELi16ELi1ELi4EEEELi4ELNS_26BlockGemmPipelineSchedulerE1ELNS_24BlockGemmPipelineVersionE1EDF16_DF16_Lb0ELb0ELb0ELi0ELb0EEELb1ELNS_25InMemoryDataOperationEnumE0ELi2ELNS_10TailNumberE10EEEvNT_8ArgumentE, .Lfunc_end4-_ZN2ck27kernel_gemm_xdl_cshuffle_v3INS_28GridwiseGemm_xdl_cshuffle_v3INS_13tensor_layout4gemm8RowMajorENS3_11ColumnMajorES4_DF16_DF16_fDF16_DF16_NS_16tensor_operation12element_wise11PassThroughES8_S8_LNS6_6device18GemmSpecializationE4ELi64ELi32ELi32ELi256ELi8ELi8ELi16ELi16ELi2ELi2ENS_8SequenceIJLi32ELi2ELi1EEEENSB_IJLi1ELi0ELi2EEEESD_Li2ELi8ELi8ELb0ELi0ESC_SD_SD_Li2ELi8ELi8ELb0ELi0ELi1ELi1ENSB_IJLi1ELi16ELi1ELi4EEEELi4ELNS_26BlockGemmPipelineSchedulerE1ELNS_24BlockGemmPipelineVersionE1EDF16_DF16_Lb0ELb0ELb0ELi0ELb0EEELb1ELNS_25InMemoryDataOperationEnumE0ELi2ELNS_10TailNumberE10EEEvNT_8ArgumentE
                                        ; -- End function
	.set _ZN2ck27kernel_gemm_xdl_cshuffle_v3INS_28GridwiseGemm_xdl_cshuffle_v3INS_13tensor_layout4gemm8RowMajorENS3_11ColumnMajorES4_DF16_DF16_fDF16_DF16_NS_16tensor_operation12element_wise11PassThroughES8_S8_LNS6_6device18GemmSpecializationE4ELi64ELi32ELi32ELi256ELi8ELi8ELi16ELi16ELi2ELi2ENS_8SequenceIJLi32ELi2ELi1EEEENSB_IJLi1ELi0ELi2EEEESD_Li2ELi8ELi8ELb0ELi0ESC_SD_SD_Li2ELi8ELi8ELb0ELi0ELi1ELi1ENSB_IJLi1ELi16ELi1ELi4EEEELi4ELNS_26BlockGemmPipelineSchedulerE1ELNS_24BlockGemmPipelineVersionE1EDF16_DF16_Lb0ELb0ELb0ELi0ELb0EEELb1ELNS_25InMemoryDataOperationEnumE0ELi2ELNS_10TailNumberE10EEEvNT_8ArgumentE.num_vgpr, 256
	.set _ZN2ck27kernel_gemm_xdl_cshuffle_v3INS_28GridwiseGemm_xdl_cshuffle_v3INS_13tensor_layout4gemm8RowMajorENS3_11ColumnMajorES4_DF16_DF16_fDF16_DF16_NS_16tensor_operation12element_wise11PassThroughES8_S8_LNS6_6device18GemmSpecializationE4ELi64ELi32ELi32ELi256ELi8ELi8ELi16ELi16ELi2ELi2ENS_8SequenceIJLi32ELi2ELi1EEEENSB_IJLi1ELi0ELi2EEEESD_Li2ELi8ELi8ELb0ELi0ESC_SD_SD_Li2ELi8ELi8ELb0ELi0ELi1ELi1ENSB_IJLi1ELi16ELi1ELi4EEEELi4ELNS_26BlockGemmPipelineSchedulerE1ELNS_24BlockGemmPipelineVersionE1EDF16_DF16_Lb0ELb0ELb0ELi0ELb0EEELb1ELNS_25InMemoryDataOperationEnumE0ELi2ELNS_10TailNumberE10EEEvNT_8ArgumentE.num_agpr, 0
	.set _ZN2ck27kernel_gemm_xdl_cshuffle_v3INS_28GridwiseGemm_xdl_cshuffle_v3INS_13tensor_layout4gemm8RowMajorENS3_11ColumnMajorES4_DF16_DF16_fDF16_DF16_NS_16tensor_operation12element_wise11PassThroughES8_S8_LNS6_6device18GemmSpecializationE4ELi64ELi32ELi32ELi256ELi8ELi8ELi16ELi16ELi2ELi2ENS_8SequenceIJLi32ELi2ELi1EEEENSB_IJLi1ELi0ELi2EEEESD_Li2ELi8ELi8ELb0ELi0ESC_SD_SD_Li2ELi8ELi8ELb0ELi0ELi1ELi1ENSB_IJLi1ELi16ELi1ELi4EEEELi4ELNS_26BlockGemmPipelineSchedulerE1ELNS_24BlockGemmPipelineVersionE1EDF16_DF16_Lb0ELb0ELb0ELi0ELb0EEELb1ELNS_25InMemoryDataOperationEnumE0ELi2ELNS_10TailNumberE10EEEvNT_8ArgumentE.numbered_sgpr, 94
	.set _ZN2ck27kernel_gemm_xdl_cshuffle_v3INS_28GridwiseGemm_xdl_cshuffle_v3INS_13tensor_layout4gemm8RowMajorENS3_11ColumnMajorES4_DF16_DF16_fDF16_DF16_NS_16tensor_operation12element_wise11PassThroughES8_S8_LNS6_6device18GemmSpecializationE4ELi64ELi32ELi32ELi256ELi8ELi8ELi16ELi16ELi2ELi2ENS_8SequenceIJLi32ELi2ELi1EEEENSB_IJLi1ELi0ELi2EEEESD_Li2ELi8ELi8ELb0ELi0ESC_SD_SD_Li2ELi8ELi8ELb0ELi0ELi1ELi1ENSB_IJLi1ELi16ELi1ELi4EEEELi4ELNS_26BlockGemmPipelineSchedulerE1ELNS_24BlockGemmPipelineVersionE1EDF16_DF16_Lb0ELb0ELb0ELi0ELb0EEELb1ELNS_25InMemoryDataOperationEnumE0ELi2ELNS_10TailNumberE10EEEvNT_8ArgumentE.num_named_barrier, 0
	.set _ZN2ck27kernel_gemm_xdl_cshuffle_v3INS_28GridwiseGemm_xdl_cshuffle_v3INS_13tensor_layout4gemm8RowMajorENS3_11ColumnMajorES4_DF16_DF16_fDF16_DF16_NS_16tensor_operation12element_wise11PassThroughES8_S8_LNS6_6device18GemmSpecializationE4ELi64ELi32ELi32ELi256ELi8ELi8ELi16ELi16ELi2ELi2ENS_8SequenceIJLi32ELi2ELi1EEEENSB_IJLi1ELi0ELi2EEEESD_Li2ELi8ELi8ELb0ELi0ESC_SD_SD_Li2ELi8ELi8ELb0ELi0ELi1ELi1ENSB_IJLi1ELi16ELi1ELi4EEEELi4ELNS_26BlockGemmPipelineSchedulerE1ELNS_24BlockGemmPipelineVersionE1EDF16_DF16_Lb0ELb0ELb0ELi0ELb0EEELb1ELNS_25InMemoryDataOperationEnumE0ELi2ELNS_10TailNumberE10EEEvNT_8ArgumentE.private_seg_size, 504
	.set _ZN2ck27kernel_gemm_xdl_cshuffle_v3INS_28GridwiseGemm_xdl_cshuffle_v3INS_13tensor_layout4gemm8RowMajorENS3_11ColumnMajorES4_DF16_DF16_fDF16_DF16_NS_16tensor_operation12element_wise11PassThroughES8_S8_LNS6_6device18GemmSpecializationE4ELi64ELi32ELi32ELi256ELi8ELi8ELi16ELi16ELi2ELi2ENS_8SequenceIJLi32ELi2ELi1EEEENSB_IJLi1ELi0ELi2EEEESD_Li2ELi8ELi8ELb0ELi0ESC_SD_SD_Li2ELi8ELi8ELb0ELi0ELi1ELi1ENSB_IJLi1ELi16ELi1ELi4EEEELi4ELNS_26BlockGemmPipelineSchedulerE1ELNS_24BlockGemmPipelineVersionE1EDF16_DF16_Lb0ELb0ELb0ELi0ELb0EEELb1ELNS_25InMemoryDataOperationEnumE0ELi2ELNS_10TailNumberE10EEEvNT_8ArgumentE.uses_vcc, 1
	.set _ZN2ck27kernel_gemm_xdl_cshuffle_v3INS_28GridwiseGemm_xdl_cshuffle_v3INS_13tensor_layout4gemm8RowMajorENS3_11ColumnMajorES4_DF16_DF16_fDF16_DF16_NS_16tensor_operation12element_wise11PassThroughES8_S8_LNS6_6device18GemmSpecializationE4ELi64ELi32ELi32ELi256ELi8ELi8ELi16ELi16ELi2ELi2ENS_8SequenceIJLi32ELi2ELi1EEEENSB_IJLi1ELi0ELi2EEEESD_Li2ELi8ELi8ELb0ELi0ESC_SD_SD_Li2ELi8ELi8ELb0ELi0ELi1ELi1ENSB_IJLi1ELi16ELi1ELi4EEEELi4ELNS_26BlockGemmPipelineSchedulerE1ELNS_24BlockGemmPipelineVersionE1EDF16_DF16_Lb0ELb0ELb0ELi0ELb0EEELb1ELNS_25InMemoryDataOperationEnumE0ELi2ELNS_10TailNumberE10EEEvNT_8ArgumentE.uses_flat_scratch, 0
	.set _ZN2ck27kernel_gemm_xdl_cshuffle_v3INS_28GridwiseGemm_xdl_cshuffle_v3INS_13tensor_layout4gemm8RowMajorENS3_11ColumnMajorES4_DF16_DF16_fDF16_DF16_NS_16tensor_operation12element_wise11PassThroughES8_S8_LNS6_6device18GemmSpecializationE4ELi64ELi32ELi32ELi256ELi8ELi8ELi16ELi16ELi2ELi2ENS_8SequenceIJLi32ELi2ELi1EEEENSB_IJLi1ELi0ELi2EEEESD_Li2ELi8ELi8ELb0ELi0ESC_SD_SD_Li2ELi8ELi8ELb0ELi0ELi1ELi1ENSB_IJLi1ELi16ELi1ELi4EEEELi4ELNS_26BlockGemmPipelineSchedulerE1ELNS_24BlockGemmPipelineVersionE1EDF16_DF16_Lb0ELb0ELb0ELi0ELb0EEELb1ELNS_25InMemoryDataOperationEnumE0ELi2ELNS_10TailNumberE10EEEvNT_8ArgumentE.has_dyn_sized_stack, 0
	.set _ZN2ck27kernel_gemm_xdl_cshuffle_v3INS_28GridwiseGemm_xdl_cshuffle_v3INS_13tensor_layout4gemm8RowMajorENS3_11ColumnMajorES4_DF16_DF16_fDF16_DF16_NS_16tensor_operation12element_wise11PassThroughES8_S8_LNS6_6device18GemmSpecializationE4ELi64ELi32ELi32ELi256ELi8ELi8ELi16ELi16ELi2ELi2ENS_8SequenceIJLi32ELi2ELi1EEEENSB_IJLi1ELi0ELi2EEEESD_Li2ELi8ELi8ELb0ELi0ESC_SD_SD_Li2ELi8ELi8ELb0ELi0ELi1ELi1ENSB_IJLi1ELi16ELi1ELi4EEEELi4ELNS_26BlockGemmPipelineSchedulerE1ELNS_24BlockGemmPipelineVersionE1EDF16_DF16_Lb0ELb0ELb0ELi0ELb0EEELb1ELNS_25InMemoryDataOperationEnumE0ELi2ELNS_10TailNumberE10EEEvNT_8ArgumentE.has_recursion, 0
	.set _ZN2ck27kernel_gemm_xdl_cshuffle_v3INS_28GridwiseGemm_xdl_cshuffle_v3INS_13tensor_layout4gemm8RowMajorENS3_11ColumnMajorES4_DF16_DF16_fDF16_DF16_NS_16tensor_operation12element_wise11PassThroughES8_S8_LNS6_6device18GemmSpecializationE4ELi64ELi32ELi32ELi256ELi8ELi8ELi16ELi16ELi2ELi2ENS_8SequenceIJLi32ELi2ELi1EEEENSB_IJLi1ELi0ELi2EEEESD_Li2ELi8ELi8ELb0ELi0ESC_SD_SD_Li2ELi8ELi8ELb0ELi0ELi1ELi1ENSB_IJLi1ELi16ELi1ELi4EEEELi4ELNS_26BlockGemmPipelineSchedulerE1ELNS_24BlockGemmPipelineVersionE1EDF16_DF16_Lb0ELb0ELb0ELi0ELb0EEELb1ELNS_25InMemoryDataOperationEnumE0ELi2ELNS_10TailNumberE10EEEvNT_8ArgumentE.has_indirect_call, 0
	.section	.AMDGPU.csdata,"",@progbits
; Kernel info:
; codeLenInByte = 16148
; TotalNumSgprs: 100
; NumVgprs: 256
; NumAgprs: 0
; TotalNumVgprs: 256
; ScratchSize: 504
; MemoryBound: 0
; FloatMode: 240
; IeeeMode: 1
; LDSByteSize: 32768 bytes/workgroup (compile time only)
; SGPRBlocks: 12
; VGPRBlocks: 31
; NumSGPRsForWavesPerEU: 102
; NumVGPRsForWavesPerEU: 256
; AccumOffset: 256
; Occupancy: 2
; WaveLimiterHint : 0
; COMPUTE_PGM_RSRC2:SCRATCH_EN: 1
; COMPUTE_PGM_RSRC2:USER_SGPR: 2
; COMPUTE_PGM_RSRC2:TRAP_HANDLER: 0
; COMPUTE_PGM_RSRC2:TGID_X_EN: 1
; COMPUTE_PGM_RSRC2:TGID_Y_EN: 0
; COMPUTE_PGM_RSRC2:TGID_Z_EN: 1
; COMPUTE_PGM_RSRC2:TIDIG_COMP_CNT: 0
; COMPUTE_PGM_RSRC3_GFX90A:ACCUM_OFFSET: 63
; COMPUTE_PGM_RSRC3_GFX90A:TG_SPLIT: 0
	.section	.text._ZN2ck27kernel_gemm_xdl_cshuffle_v3INS_28GridwiseGemm_xdl_cshuffle_v3INS_13tensor_layout4gemm8RowMajorENS3_11ColumnMajorES4_DF16_DF16_fDF16_DF16_NS_16tensor_operation12element_wise11PassThroughES8_S8_LNS6_6device18GemmSpecializationE4ELi64ELi32ELi32ELi256ELi8ELi8ELi16ELi16ELi2ELi1ENS_8SequenceIJLi32ELi2ELi1EEEENSB_IJLi1ELi0ELi2EEEESD_Li2ELi8ELi8ELb0ELi0ESC_SD_SD_Li2ELi8ELi8ELb0ELi0ELi1ELi1ENSB_IJLi1ELi16ELi1ELi4EEEELi4ELNS_26BlockGemmPipelineSchedulerE1ELNS_24BlockGemmPipelineVersionE1EDF16_DF16_Lb0ELb0ELb0ELi0ELb0EEELb1ELNS_25InMemoryDataOperationEnumE1ELi2ELNS_10TailNumberE2EEEvNT_8ArgumentE,"axG",@progbits,_ZN2ck27kernel_gemm_xdl_cshuffle_v3INS_28GridwiseGemm_xdl_cshuffle_v3INS_13tensor_layout4gemm8RowMajorENS3_11ColumnMajorES4_DF16_DF16_fDF16_DF16_NS_16tensor_operation12element_wise11PassThroughES8_S8_LNS6_6device18GemmSpecializationE4ELi64ELi32ELi32ELi256ELi8ELi8ELi16ELi16ELi2ELi1ENS_8SequenceIJLi32ELi2ELi1EEEENSB_IJLi1ELi0ELi2EEEESD_Li2ELi8ELi8ELb0ELi0ESC_SD_SD_Li2ELi8ELi8ELb0ELi0ELi1ELi1ENSB_IJLi1ELi16ELi1ELi4EEEELi4ELNS_26BlockGemmPipelineSchedulerE1ELNS_24BlockGemmPipelineVersionE1EDF16_DF16_Lb0ELb0ELb0ELi0ELb0EEELb1ELNS_25InMemoryDataOperationEnumE1ELi2ELNS_10TailNumberE2EEEvNT_8ArgumentE,comdat
	.protected	_ZN2ck27kernel_gemm_xdl_cshuffle_v3INS_28GridwiseGemm_xdl_cshuffle_v3INS_13tensor_layout4gemm8RowMajorENS3_11ColumnMajorES4_DF16_DF16_fDF16_DF16_NS_16tensor_operation12element_wise11PassThroughES8_S8_LNS6_6device18GemmSpecializationE4ELi64ELi32ELi32ELi256ELi8ELi8ELi16ELi16ELi2ELi1ENS_8SequenceIJLi32ELi2ELi1EEEENSB_IJLi1ELi0ELi2EEEESD_Li2ELi8ELi8ELb0ELi0ESC_SD_SD_Li2ELi8ELi8ELb0ELi0ELi1ELi1ENSB_IJLi1ELi16ELi1ELi4EEEELi4ELNS_26BlockGemmPipelineSchedulerE1ELNS_24BlockGemmPipelineVersionE1EDF16_DF16_Lb0ELb0ELb0ELi0ELb0EEELb1ELNS_25InMemoryDataOperationEnumE1ELi2ELNS_10TailNumberE2EEEvNT_8ArgumentE ; -- Begin function _ZN2ck27kernel_gemm_xdl_cshuffle_v3INS_28GridwiseGemm_xdl_cshuffle_v3INS_13tensor_layout4gemm8RowMajorENS3_11ColumnMajorES4_DF16_DF16_fDF16_DF16_NS_16tensor_operation12element_wise11PassThroughES8_S8_LNS6_6device18GemmSpecializationE4ELi64ELi32ELi32ELi256ELi8ELi8ELi16ELi16ELi2ELi1ENS_8SequenceIJLi32ELi2ELi1EEEENSB_IJLi1ELi0ELi2EEEESD_Li2ELi8ELi8ELb0ELi0ESC_SD_SD_Li2ELi8ELi8ELb0ELi0ELi1ELi1ENSB_IJLi1ELi16ELi1ELi4EEEELi4ELNS_26BlockGemmPipelineSchedulerE1ELNS_24BlockGemmPipelineVersionE1EDF16_DF16_Lb0ELb0ELb0ELi0ELb0EEELb1ELNS_25InMemoryDataOperationEnumE1ELi2ELNS_10TailNumberE2EEEvNT_8ArgumentE
	.globl	_ZN2ck27kernel_gemm_xdl_cshuffle_v3INS_28GridwiseGemm_xdl_cshuffle_v3INS_13tensor_layout4gemm8RowMajorENS3_11ColumnMajorES4_DF16_DF16_fDF16_DF16_NS_16tensor_operation12element_wise11PassThroughES8_S8_LNS6_6device18GemmSpecializationE4ELi64ELi32ELi32ELi256ELi8ELi8ELi16ELi16ELi2ELi1ENS_8SequenceIJLi32ELi2ELi1EEEENSB_IJLi1ELi0ELi2EEEESD_Li2ELi8ELi8ELb0ELi0ESC_SD_SD_Li2ELi8ELi8ELb0ELi0ELi1ELi1ENSB_IJLi1ELi16ELi1ELi4EEEELi4ELNS_26BlockGemmPipelineSchedulerE1ELNS_24BlockGemmPipelineVersionE1EDF16_DF16_Lb0ELb0ELb0ELi0ELb0EEELb1ELNS_25InMemoryDataOperationEnumE1ELi2ELNS_10TailNumberE2EEEvNT_8ArgumentE
	.p2align	8
	.type	_ZN2ck27kernel_gemm_xdl_cshuffle_v3INS_28GridwiseGemm_xdl_cshuffle_v3INS_13tensor_layout4gemm8RowMajorENS3_11ColumnMajorES4_DF16_DF16_fDF16_DF16_NS_16tensor_operation12element_wise11PassThroughES8_S8_LNS6_6device18GemmSpecializationE4ELi64ELi32ELi32ELi256ELi8ELi8ELi16ELi16ELi2ELi1ENS_8SequenceIJLi32ELi2ELi1EEEENSB_IJLi1ELi0ELi2EEEESD_Li2ELi8ELi8ELb0ELi0ESC_SD_SD_Li2ELi8ELi8ELb0ELi0ELi1ELi1ENSB_IJLi1ELi16ELi1ELi4EEEELi4ELNS_26BlockGemmPipelineSchedulerE1ELNS_24BlockGemmPipelineVersionE1EDF16_DF16_Lb0ELb0ELb0ELi0ELb0EEELb1ELNS_25InMemoryDataOperationEnumE1ELi2ELNS_10TailNumberE2EEEvNT_8ArgumentE,@function
_ZN2ck27kernel_gemm_xdl_cshuffle_v3INS_28GridwiseGemm_xdl_cshuffle_v3INS_13tensor_layout4gemm8RowMajorENS3_11ColumnMajorES4_DF16_DF16_fDF16_DF16_NS_16tensor_operation12element_wise11PassThroughES8_S8_LNS6_6device18GemmSpecializationE4ELi64ELi32ELi32ELi256ELi8ELi8ELi16ELi16ELi2ELi1ENS_8SequenceIJLi32ELi2ELi1EEEENSB_IJLi1ELi0ELi2EEEESD_Li2ELi8ELi8ELb0ELi0ESC_SD_SD_Li2ELi8ELi8ELb0ELi0ELi1ELi1ENSB_IJLi1ELi16ELi1ELi4EEEELi4ELNS_26BlockGemmPipelineSchedulerE1ELNS_24BlockGemmPipelineVersionE1EDF16_DF16_Lb0ELb0ELb0ELi0ELb0EEELb1ELNS_25InMemoryDataOperationEnumE1ELi2ELNS_10TailNumberE2EEEvNT_8ArgumentE: ; @_ZN2ck27kernel_gemm_xdl_cshuffle_v3INS_28GridwiseGemm_xdl_cshuffle_v3INS_13tensor_layout4gemm8RowMajorENS3_11ColumnMajorES4_DF16_DF16_fDF16_DF16_NS_16tensor_operation12element_wise11PassThroughES8_S8_LNS6_6device18GemmSpecializationE4ELi64ELi32ELi32ELi256ELi8ELi8ELi16ELi16ELi2ELi1ENS_8SequenceIJLi32ELi2ELi1EEEENSB_IJLi1ELi0ELi2EEEESD_Li2ELi8ELi8ELb0ELi0ESC_SD_SD_Li2ELi8ELi8ELb0ELi0ELi1ELi1ENSB_IJLi1ELi16ELi1ELi4EEEELi4ELNS_26BlockGemmPipelineSchedulerE1ELNS_24BlockGemmPipelineVersionE1EDF16_DF16_Lb0ELb0ELb0ELi0ELb0EEELb1ELNS_25InMemoryDataOperationEnumE1ELi2ELNS_10TailNumberE2EEEvNT_8ArgumentE
; %bb.0:
	s_endpgm
	.section	.rodata,"a",@progbits
	.p2align	6, 0x0
	.amdhsa_kernel _ZN2ck27kernel_gemm_xdl_cshuffle_v3INS_28GridwiseGemm_xdl_cshuffle_v3INS_13tensor_layout4gemm8RowMajorENS3_11ColumnMajorES4_DF16_DF16_fDF16_DF16_NS_16tensor_operation12element_wise11PassThroughES8_S8_LNS6_6device18GemmSpecializationE4ELi64ELi32ELi32ELi256ELi8ELi8ELi16ELi16ELi2ELi1ENS_8SequenceIJLi32ELi2ELi1EEEENSB_IJLi1ELi0ELi2EEEESD_Li2ELi8ELi8ELb0ELi0ESC_SD_SD_Li2ELi8ELi8ELb0ELi0ELi1ELi1ENSB_IJLi1ELi16ELi1ELi4EEEELi4ELNS_26BlockGemmPipelineSchedulerE1ELNS_24BlockGemmPipelineVersionE1EDF16_DF16_Lb0ELb0ELb0ELi0ELb0EEELb1ELNS_25InMemoryDataOperationEnumE1ELi2ELNS_10TailNumberE2EEEvNT_8ArgumentE
		.amdhsa_group_segment_fixed_size 0
		.amdhsa_private_segment_fixed_size 0
		.amdhsa_kernarg_size 112
		.amdhsa_user_sgpr_count 2
		.amdhsa_user_sgpr_dispatch_ptr 0
		.amdhsa_user_sgpr_queue_ptr 0
		.amdhsa_user_sgpr_kernarg_segment_ptr 1
		.amdhsa_user_sgpr_dispatch_id 0
		.amdhsa_user_sgpr_kernarg_preload_length 0
		.amdhsa_user_sgpr_kernarg_preload_offset 0
		.amdhsa_user_sgpr_private_segment_size 0
		.amdhsa_uses_dynamic_stack 0
		.amdhsa_enable_private_segment 0
		.amdhsa_system_sgpr_workgroup_id_x 1
		.amdhsa_system_sgpr_workgroup_id_y 0
		.amdhsa_system_sgpr_workgroup_id_z 0
		.amdhsa_system_sgpr_workgroup_info 0
		.amdhsa_system_vgpr_workitem_id 0
		.amdhsa_next_free_vgpr 1
		.amdhsa_next_free_sgpr 0
		.amdhsa_accum_offset 4
		.amdhsa_reserve_vcc 0
		.amdhsa_float_round_mode_32 0
		.amdhsa_float_round_mode_16_64 0
		.amdhsa_float_denorm_mode_32 3
		.amdhsa_float_denorm_mode_16_64 3
		.amdhsa_dx10_clamp 1
		.amdhsa_ieee_mode 1
		.amdhsa_fp16_overflow 0
		.amdhsa_tg_split 0
		.amdhsa_exception_fp_ieee_invalid_op 0
		.amdhsa_exception_fp_denorm_src 0
		.amdhsa_exception_fp_ieee_div_zero 0
		.amdhsa_exception_fp_ieee_overflow 0
		.amdhsa_exception_fp_ieee_underflow 0
		.amdhsa_exception_fp_ieee_inexact 0
		.amdhsa_exception_int_div_zero 0
	.end_amdhsa_kernel
	.section	.text._ZN2ck27kernel_gemm_xdl_cshuffle_v3INS_28GridwiseGemm_xdl_cshuffle_v3INS_13tensor_layout4gemm8RowMajorENS3_11ColumnMajorES4_DF16_DF16_fDF16_DF16_NS_16tensor_operation12element_wise11PassThroughES8_S8_LNS6_6device18GemmSpecializationE4ELi64ELi32ELi32ELi256ELi8ELi8ELi16ELi16ELi2ELi1ENS_8SequenceIJLi32ELi2ELi1EEEENSB_IJLi1ELi0ELi2EEEESD_Li2ELi8ELi8ELb0ELi0ESC_SD_SD_Li2ELi8ELi8ELb0ELi0ELi1ELi1ENSB_IJLi1ELi16ELi1ELi4EEEELi4ELNS_26BlockGemmPipelineSchedulerE1ELNS_24BlockGemmPipelineVersionE1EDF16_DF16_Lb0ELb0ELb0ELi0ELb0EEELb1ELNS_25InMemoryDataOperationEnumE1ELi2ELNS_10TailNumberE2EEEvNT_8ArgumentE,"axG",@progbits,_ZN2ck27kernel_gemm_xdl_cshuffle_v3INS_28GridwiseGemm_xdl_cshuffle_v3INS_13tensor_layout4gemm8RowMajorENS3_11ColumnMajorES4_DF16_DF16_fDF16_DF16_NS_16tensor_operation12element_wise11PassThroughES8_S8_LNS6_6device18GemmSpecializationE4ELi64ELi32ELi32ELi256ELi8ELi8ELi16ELi16ELi2ELi1ENS_8SequenceIJLi32ELi2ELi1EEEENSB_IJLi1ELi0ELi2EEEESD_Li2ELi8ELi8ELb0ELi0ESC_SD_SD_Li2ELi8ELi8ELb0ELi0ELi1ELi1ENSB_IJLi1ELi16ELi1ELi4EEEELi4ELNS_26BlockGemmPipelineSchedulerE1ELNS_24BlockGemmPipelineVersionE1EDF16_DF16_Lb0ELb0ELb0ELi0ELb0EEELb1ELNS_25InMemoryDataOperationEnumE1ELi2ELNS_10TailNumberE2EEEvNT_8ArgumentE,comdat
.Lfunc_end5:
	.size	_ZN2ck27kernel_gemm_xdl_cshuffle_v3INS_28GridwiseGemm_xdl_cshuffle_v3INS_13tensor_layout4gemm8RowMajorENS3_11ColumnMajorES4_DF16_DF16_fDF16_DF16_NS_16tensor_operation12element_wise11PassThroughES8_S8_LNS6_6device18GemmSpecializationE4ELi64ELi32ELi32ELi256ELi8ELi8ELi16ELi16ELi2ELi1ENS_8SequenceIJLi32ELi2ELi1EEEENSB_IJLi1ELi0ELi2EEEESD_Li2ELi8ELi8ELb0ELi0ESC_SD_SD_Li2ELi8ELi8ELb0ELi0ELi1ELi1ENSB_IJLi1ELi16ELi1ELi4EEEELi4ELNS_26BlockGemmPipelineSchedulerE1ELNS_24BlockGemmPipelineVersionE1EDF16_DF16_Lb0ELb0ELb0ELi0ELb0EEELb1ELNS_25InMemoryDataOperationEnumE1ELi2ELNS_10TailNumberE2EEEvNT_8ArgumentE, .Lfunc_end5-_ZN2ck27kernel_gemm_xdl_cshuffle_v3INS_28GridwiseGemm_xdl_cshuffle_v3INS_13tensor_layout4gemm8RowMajorENS3_11ColumnMajorES4_DF16_DF16_fDF16_DF16_NS_16tensor_operation12element_wise11PassThroughES8_S8_LNS6_6device18GemmSpecializationE4ELi64ELi32ELi32ELi256ELi8ELi8ELi16ELi16ELi2ELi1ENS_8SequenceIJLi32ELi2ELi1EEEENSB_IJLi1ELi0ELi2EEEESD_Li2ELi8ELi8ELb0ELi0ESC_SD_SD_Li2ELi8ELi8ELb0ELi0ELi1ELi1ENSB_IJLi1ELi16ELi1ELi4EEEELi4ELNS_26BlockGemmPipelineSchedulerE1ELNS_24BlockGemmPipelineVersionE1EDF16_DF16_Lb0ELb0ELb0ELi0ELb0EEELb1ELNS_25InMemoryDataOperationEnumE1ELi2ELNS_10TailNumberE2EEEvNT_8ArgumentE
                                        ; -- End function
	.set _ZN2ck27kernel_gemm_xdl_cshuffle_v3INS_28GridwiseGemm_xdl_cshuffle_v3INS_13tensor_layout4gemm8RowMajorENS3_11ColumnMajorES4_DF16_DF16_fDF16_DF16_NS_16tensor_operation12element_wise11PassThroughES8_S8_LNS6_6device18GemmSpecializationE4ELi64ELi32ELi32ELi256ELi8ELi8ELi16ELi16ELi2ELi1ENS_8SequenceIJLi32ELi2ELi1EEEENSB_IJLi1ELi0ELi2EEEESD_Li2ELi8ELi8ELb0ELi0ESC_SD_SD_Li2ELi8ELi8ELb0ELi0ELi1ELi1ENSB_IJLi1ELi16ELi1ELi4EEEELi4ELNS_26BlockGemmPipelineSchedulerE1ELNS_24BlockGemmPipelineVersionE1EDF16_DF16_Lb0ELb0ELb0ELi0ELb0EEELb1ELNS_25InMemoryDataOperationEnumE1ELi2ELNS_10TailNumberE2EEEvNT_8ArgumentE.num_vgpr, 0
	.set _ZN2ck27kernel_gemm_xdl_cshuffle_v3INS_28GridwiseGemm_xdl_cshuffle_v3INS_13tensor_layout4gemm8RowMajorENS3_11ColumnMajorES4_DF16_DF16_fDF16_DF16_NS_16tensor_operation12element_wise11PassThroughES8_S8_LNS6_6device18GemmSpecializationE4ELi64ELi32ELi32ELi256ELi8ELi8ELi16ELi16ELi2ELi1ENS_8SequenceIJLi32ELi2ELi1EEEENSB_IJLi1ELi0ELi2EEEESD_Li2ELi8ELi8ELb0ELi0ESC_SD_SD_Li2ELi8ELi8ELb0ELi0ELi1ELi1ENSB_IJLi1ELi16ELi1ELi4EEEELi4ELNS_26BlockGemmPipelineSchedulerE1ELNS_24BlockGemmPipelineVersionE1EDF16_DF16_Lb0ELb0ELb0ELi0ELb0EEELb1ELNS_25InMemoryDataOperationEnumE1ELi2ELNS_10TailNumberE2EEEvNT_8ArgumentE.num_agpr, 0
	.set _ZN2ck27kernel_gemm_xdl_cshuffle_v3INS_28GridwiseGemm_xdl_cshuffle_v3INS_13tensor_layout4gemm8RowMajorENS3_11ColumnMajorES4_DF16_DF16_fDF16_DF16_NS_16tensor_operation12element_wise11PassThroughES8_S8_LNS6_6device18GemmSpecializationE4ELi64ELi32ELi32ELi256ELi8ELi8ELi16ELi16ELi2ELi1ENS_8SequenceIJLi32ELi2ELi1EEEENSB_IJLi1ELi0ELi2EEEESD_Li2ELi8ELi8ELb0ELi0ESC_SD_SD_Li2ELi8ELi8ELb0ELi0ELi1ELi1ENSB_IJLi1ELi16ELi1ELi4EEEELi4ELNS_26BlockGemmPipelineSchedulerE1ELNS_24BlockGemmPipelineVersionE1EDF16_DF16_Lb0ELb0ELb0ELi0ELb0EEELb1ELNS_25InMemoryDataOperationEnumE1ELi2ELNS_10TailNumberE2EEEvNT_8ArgumentE.numbered_sgpr, 0
	.set _ZN2ck27kernel_gemm_xdl_cshuffle_v3INS_28GridwiseGemm_xdl_cshuffle_v3INS_13tensor_layout4gemm8RowMajorENS3_11ColumnMajorES4_DF16_DF16_fDF16_DF16_NS_16tensor_operation12element_wise11PassThroughES8_S8_LNS6_6device18GemmSpecializationE4ELi64ELi32ELi32ELi256ELi8ELi8ELi16ELi16ELi2ELi1ENS_8SequenceIJLi32ELi2ELi1EEEENSB_IJLi1ELi0ELi2EEEESD_Li2ELi8ELi8ELb0ELi0ESC_SD_SD_Li2ELi8ELi8ELb0ELi0ELi1ELi1ENSB_IJLi1ELi16ELi1ELi4EEEELi4ELNS_26BlockGemmPipelineSchedulerE1ELNS_24BlockGemmPipelineVersionE1EDF16_DF16_Lb0ELb0ELb0ELi0ELb0EEELb1ELNS_25InMemoryDataOperationEnumE1ELi2ELNS_10TailNumberE2EEEvNT_8ArgumentE.num_named_barrier, 0
	.set _ZN2ck27kernel_gemm_xdl_cshuffle_v3INS_28GridwiseGemm_xdl_cshuffle_v3INS_13tensor_layout4gemm8RowMajorENS3_11ColumnMajorES4_DF16_DF16_fDF16_DF16_NS_16tensor_operation12element_wise11PassThroughES8_S8_LNS6_6device18GemmSpecializationE4ELi64ELi32ELi32ELi256ELi8ELi8ELi16ELi16ELi2ELi1ENS_8SequenceIJLi32ELi2ELi1EEEENSB_IJLi1ELi0ELi2EEEESD_Li2ELi8ELi8ELb0ELi0ESC_SD_SD_Li2ELi8ELi8ELb0ELi0ELi1ELi1ENSB_IJLi1ELi16ELi1ELi4EEEELi4ELNS_26BlockGemmPipelineSchedulerE1ELNS_24BlockGemmPipelineVersionE1EDF16_DF16_Lb0ELb0ELb0ELi0ELb0EEELb1ELNS_25InMemoryDataOperationEnumE1ELi2ELNS_10TailNumberE2EEEvNT_8ArgumentE.private_seg_size, 0
	.set _ZN2ck27kernel_gemm_xdl_cshuffle_v3INS_28GridwiseGemm_xdl_cshuffle_v3INS_13tensor_layout4gemm8RowMajorENS3_11ColumnMajorES4_DF16_DF16_fDF16_DF16_NS_16tensor_operation12element_wise11PassThroughES8_S8_LNS6_6device18GemmSpecializationE4ELi64ELi32ELi32ELi256ELi8ELi8ELi16ELi16ELi2ELi1ENS_8SequenceIJLi32ELi2ELi1EEEENSB_IJLi1ELi0ELi2EEEESD_Li2ELi8ELi8ELb0ELi0ESC_SD_SD_Li2ELi8ELi8ELb0ELi0ELi1ELi1ENSB_IJLi1ELi16ELi1ELi4EEEELi4ELNS_26BlockGemmPipelineSchedulerE1ELNS_24BlockGemmPipelineVersionE1EDF16_DF16_Lb0ELb0ELb0ELi0ELb0EEELb1ELNS_25InMemoryDataOperationEnumE1ELi2ELNS_10TailNumberE2EEEvNT_8ArgumentE.uses_vcc, 0
	.set _ZN2ck27kernel_gemm_xdl_cshuffle_v3INS_28GridwiseGemm_xdl_cshuffle_v3INS_13tensor_layout4gemm8RowMajorENS3_11ColumnMajorES4_DF16_DF16_fDF16_DF16_NS_16tensor_operation12element_wise11PassThroughES8_S8_LNS6_6device18GemmSpecializationE4ELi64ELi32ELi32ELi256ELi8ELi8ELi16ELi16ELi2ELi1ENS_8SequenceIJLi32ELi2ELi1EEEENSB_IJLi1ELi0ELi2EEEESD_Li2ELi8ELi8ELb0ELi0ESC_SD_SD_Li2ELi8ELi8ELb0ELi0ELi1ELi1ENSB_IJLi1ELi16ELi1ELi4EEEELi4ELNS_26BlockGemmPipelineSchedulerE1ELNS_24BlockGemmPipelineVersionE1EDF16_DF16_Lb0ELb0ELb0ELi0ELb0EEELb1ELNS_25InMemoryDataOperationEnumE1ELi2ELNS_10TailNumberE2EEEvNT_8ArgumentE.uses_flat_scratch, 0
	.set _ZN2ck27kernel_gemm_xdl_cshuffle_v3INS_28GridwiseGemm_xdl_cshuffle_v3INS_13tensor_layout4gemm8RowMajorENS3_11ColumnMajorES4_DF16_DF16_fDF16_DF16_NS_16tensor_operation12element_wise11PassThroughES8_S8_LNS6_6device18GemmSpecializationE4ELi64ELi32ELi32ELi256ELi8ELi8ELi16ELi16ELi2ELi1ENS_8SequenceIJLi32ELi2ELi1EEEENSB_IJLi1ELi0ELi2EEEESD_Li2ELi8ELi8ELb0ELi0ESC_SD_SD_Li2ELi8ELi8ELb0ELi0ELi1ELi1ENSB_IJLi1ELi16ELi1ELi4EEEELi4ELNS_26BlockGemmPipelineSchedulerE1ELNS_24BlockGemmPipelineVersionE1EDF16_DF16_Lb0ELb0ELb0ELi0ELb0EEELb1ELNS_25InMemoryDataOperationEnumE1ELi2ELNS_10TailNumberE2EEEvNT_8ArgumentE.has_dyn_sized_stack, 0
	.set _ZN2ck27kernel_gemm_xdl_cshuffle_v3INS_28GridwiseGemm_xdl_cshuffle_v3INS_13tensor_layout4gemm8RowMajorENS3_11ColumnMajorES4_DF16_DF16_fDF16_DF16_NS_16tensor_operation12element_wise11PassThroughES8_S8_LNS6_6device18GemmSpecializationE4ELi64ELi32ELi32ELi256ELi8ELi8ELi16ELi16ELi2ELi1ENS_8SequenceIJLi32ELi2ELi1EEEENSB_IJLi1ELi0ELi2EEEESD_Li2ELi8ELi8ELb0ELi0ESC_SD_SD_Li2ELi8ELi8ELb0ELi0ELi1ELi1ENSB_IJLi1ELi16ELi1ELi4EEEELi4ELNS_26BlockGemmPipelineSchedulerE1ELNS_24BlockGemmPipelineVersionE1EDF16_DF16_Lb0ELb0ELb0ELi0ELb0EEELb1ELNS_25InMemoryDataOperationEnumE1ELi2ELNS_10TailNumberE2EEEvNT_8ArgumentE.has_recursion, 0
	.set _ZN2ck27kernel_gemm_xdl_cshuffle_v3INS_28GridwiseGemm_xdl_cshuffle_v3INS_13tensor_layout4gemm8RowMajorENS3_11ColumnMajorES4_DF16_DF16_fDF16_DF16_NS_16tensor_operation12element_wise11PassThroughES8_S8_LNS6_6device18GemmSpecializationE4ELi64ELi32ELi32ELi256ELi8ELi8ELi16ELi16ELi2ELi1ENS_8SequenceIJLi32ELi2ELi1EEEENSB_IJLi1ELi0ELi2EEEESD_Li2ELi8ELi8ELb0ELi0ESC_SD_SD_Li2ELi8ELi8ELb0ELi0ELi1ELi1ENSB_IJLi1ELi16ELi1ELi4EEEELi4ELNS_26BlockGemmPipelineSchedulerE1ELNS_24BlockGemmPipelineVersionE1EDF16_DF16_Lb0ELb0ELb0ELi0ELb0EEELb1ELNS_25InMemoryDataOperationEnumE1ELi2ELNS_10TailNumberE2EEEvNT_8ArgumentE.has_indirect_call, 0
	.section	.AMDGPU.csdata,"",@progbits
; Kernel info:
; codeLenInByte = 4
; TotalNumSgprs: 6
; NumVgprs: 0
; NumAgprs: 0
; TotalNumVgprs: 0
; ScratchSize: 0
; MemoryBound: 0
; FloatMode: 240
; IeeeMode: 1
; LDSByteSize: 0 bytes/workgroup (compile time only)
; SGPRBlocks: 0
; VGPRBlocks: 0
; NumSGPRsForWavesPerEU: 6
; NumVGPRsForWavesPerEU: 1
; AccumOffset: 4
; Occupancy: 8
; WaveLimiterHint : 0
; COMPUTE_PGM_RSRC2:SCRATCH_EN: 0
; COMPUTE_PGM_RSRC2:USER_SGPR: 2
; COMPUTE_PGM_RSRC2:TRAP_HANDLER: 0
; COMPUTE_PGM_RSRC2:TGID_X_EN: 1
; COMPUTE_PGM_RSRC2:TGID_Y_EN: 0
; COMPUTE_PGM_RSRC2:TGID_Z_EN: 0
; COMPUTE_PGM_RSRC2:TIDIG_COMP_CNT: 0
; COMPUTE_PGM_RSRC3_GFX90A:ACCUM_OFFSET: 0
; COMPUTE_PGM_RSRC3_GFX90A:TG_SPLIT: 0
	.section	.text._ZN2ck27kernel_gemm_xdl_cshuffle_v3INS_28GridwiseGemm_xdl_cshuffle_v3INS_13tensor_layout4gemm8RowMajorENS3_11ColumnMajorES4_DF16_DF16_fDF16_DF16_NS_16tensor_operation12element_wise11PassThroughES8_S8_LNS6_6device18GemmSpecializationE4ELi64ELi32ELi32ELi256ELi8ELi8ELi16ELi16ELi2ELi1ENS_8SequenceIJLi32ELi2ELi1EEEENSB_IJLi1ELi0ELi2EEEESD_Li2ELi8ELi8ELb0ELi0ESC_SD_SD_Li2ELi8ELi8ELb0ELi0ELi1ELi1ENSB_IJLi1ELi16ELi1ELi4EEEELi4ELNS_26BlockGemmPipelineSchedulerE1ELNS_24BlockGemmPipelineVersionE1EDF16_DF16_Lb0ELb0ELb0ELi0ELb0EEELb1ELNS_25InMemoryDataOperationEnumE1ELi2ELNS_10TailNumberE10EEEvNT_8ArgumentE,"axG",@progbits,_ZN2ck27kernel_gemm_xdl_cshuffle_v3INS_28GridwiseGemm_xdl_cshuffle_v3INS_13tensor_layout4gemm8RowMajorENS3_11ColumnMajorES4_DF16_DF16_fDF16_DF16_NS_16tensor_operation12element_wise11PassThroughES8_S8_LNS6_6device18GemmSpecializationE4ELi64ELi32ELi32ELi256ELi8ELi8ELi16ELi16ELi2ELi1ENS_8SequenceIJLi32ELi2ELi1EEEENSB_IJLi1ELi0ELi2EEEESD_Li2ELi8ELi8ELb0ELi0ESC_SD_SD_Li2ELi8ELi8ELb0ELi0ELi1ELi1ENSB_IJLi1ELi16ELi1ELi4EEEELi4ELNS_26BlockGemmPipelineSchedulerE1ELNS_24BlockGemmPipelineVersionE1EDF16_DF16_Lb0ELb0ELb0ELi0ELb0EEELb1ELNS_25InMemoryDataOperationEnumE1ELi2ELNS_10TailNumberE10EEEvNT_8ArgumentE,comdat
	.protected	_ZN2ck27kernel_gemm_xdl_cshuffle_v3INS_28GridwiseGemm_xdl_cshuffle_v3INS_13tensor_layout4gemm8RowMajorENS3_11ColumnMajorES4_DF16_DF16_fDF16_DF16_NS_16tensor_operation12element_wise11PassThroughES8_S8_LNS6_6device18GemmSpecializationE4ELi64ELi32ELi32ELi256ELi8ELi8ELi16ELi16ELi2ELi1ENS_8SequenceIJLi32ELi2ELi1EEEENSB_IJLi1ELi0ELi2EEEESD_Li2ELi8ELi8ELb0ELi0ESC_SD_SD_Li2ELi8ELi8ELb0ELi0ELi1ELi1ENSB_IJLi1ELi16ELi1ELi4EEEELi4ELNS_26BlockGemmPipelineSchedulerE1ELNS_24BlockGemmPipelineVersionE1EDF16_DF16_Lb0ELb0ELb0ELi0ELb0EEELb1ELNS_25InMemoryDataOperationEnumE1ELi2ELNS_10TailNumberE10EEEvNT_8ArgumentE ; -- Begin function _ZN2ck27kernel_gemm_xdl_cshuffle_v3INS_28GridwiseGemm_xdl_cshuffle_v3INS_13tensor_layout4gemm8RowMajorENS3_11ColumnMajorES4_DF16_DF16_fDF16_DF16_NS_16tensor_operation12element_wise11PassThroughES8_S8_LNS6_6device18GemmSpecializationE4ELi64ELi32ELi32ELi256ELi8ELi8ELi16ELi16ELi2ELi1ENS_8SequenceIJLi32ELi2ELi1EEEENSB_IJLi1ELi0ELi2EEEESD_Li2ELi8ELi8ELb0ELi0ESC_SD_SD_Li2ELi8ELi8ELb0ELi0ELi1ELi1ENSB_IJLi1ELi16ELi1ELi4EEEELi4ELNS_26BlockGemmPipelineSchedulerE1ELNS_24BlockGemmPipelineVersionE1EDF16_DF16_Lb0ELb0ELb0ELi0ELb0EEELb1ELNS_25InMemoryDataOperationEnumE1ELi2ELNS_10TailNumberE10EEEvNT_8ArgumentE
	.globl	_ZN2ck27kernel_gemm_xdl_cshuffle_v3INS_28GridwiseGemm_xdl_cshuffle_v3INS_13tensor_layout4gemm8RowMajorENS3_11ColumnMajorES4_DF16_DF16_fDF16_DF16_NS_16tensor_operation12element_wise11PassThroughES8_S8_LNS6_6device18GemmSpecializationE4ELi64ELi32ELi32ELi256ELi8ELi8ELi16ELi16ELi2ELi1ENS_8SequenceIJLi32ELi2ELi1EEEENSB_IJLi1ELi0ELi2EEEESD_Li2ELi8ELi8ELb0ELi0ESC_SD_SD_Li2ELi8ELi8ELb0ELi0ELi1ELi1ENSB_IJLi1ELi16ELi1ELi4EEEELi4ELNS_26BlockGemmPipelineSchedulerE1ELNS_24BlockGemmPipelineVersionE1EDF16_DF16_Lb0ELb0ELb0ELi0ELb0EEELb1ELNS_25InMemoryDataOperationEnumE1ELi2ELNS_10TailNumberE10EEEvNT_8ArgumentE
	.p2align	8
	.type	_ZN2ck27kernel_gemm_xdl_cshuffle_v3INS_28GridwiseGemm_xdl_cshuffle_v3INS_13tensor_layout4gemm8RowMajorENS3_11ColumnMajorES4_DF16_DF16_fDF16_DF16_NS_16tensor_operation12element_wise11PassThroughES8_S8_LNS6_6device18GemmSpecializationE4ELi64ELi32ELi32ELi256ELi8ELi8ELi16ELi16ELi2ELi1ENS_8SequenceIJLi32ELi2ELi1EEEENSB_IJLi1ELi0ELi2EEEESD_Li2ELi8ELi8ELb0ELi0ESC_SD_SD_Li2ELi8ELi8ELb0ELi0ELi1ELi1ENSB_IJLi1ELi16ELi1ELi4EEEELi4ELNS_26BlockGemmPipelineSchedulerE1ELNS_24BlockGemmPipelineVersionE1EDF16_DF16_Lb0ELb0ELb0ELi0ELb0EEELb1ELNS_25InMemoryDataOperationEnumE1ELi2ELNS_10TailNumberE10EEEvNT_8ArgumentE,@function
_ZN2ck27kernel_gemm_xdl_cshuffle_v3INS_28GridwiseGemm_xdl_cshuffle_v3INS_13tensor_layout4gemm8RowMajorENS3_11ColumnMajorES4_DF16_DF16_fDF16_DF16_NS_16tensor_operation12element_wise11PassThroughES8_S8_LNS6_6device18GemmSpecializationE4ELi64ELi32ELi32ELi256ELi8ELi8ELi16ELi16ELi2ELi1ENS_8SequenceIJLi32ELi2ELi1EEEENSB_IJLi1ELi0ELi2EEEESD_Li2ELi8ELi8ELb0ELi0ESC_SD_SD_Li2ELi8ELi8ELb0ELi0ELi1ELi1ENSB_IJLi1ELi16ELi1ELi4EEEELi4ELNS_26BlockGemmPipelineSchedulerE1ELNS_24BlockGemmPipelineVersionE1EDF16_DF16_Lb0ELb0ELb0ELi0ELb0EEELb1ELNS_25InMemoryDataOperationEnumE1ELi2ELNS_10TailNumberE10EEEvNT_8ArgumentE: ; @_ZN2ck27kernel_gemm_xdl_cshuffle_v3INS_28GridwiseGemm_xdl_cshuffle_v3INS_13tensor_layout4gemm8RowMajorENS3_11ColumnMajorES4_DF16_DF16_fDF16_DF16_NS_16tensor_operation12element_wise11PassThroughES8_S8_LNS6_6device18GemmSpecializationE4ELi64ELi32ELi32ELi256ELi8ELi8ELi16ELi16ELi2ELi1ENS_8SequenceIJLi32ELi2ELi1EEEENSB_IJLi1ELi0ELi2EEEESD_Li2ELi8ELi8ELb0ELi0ESC_SD_SD_Li2ELi8ELi8ELb0ELi0ELi1ELi1ENSB_IJLi1ELi16ELi1ELi4EEEELi4ELNS_26BlockGemmPipelineSchedulerE1ELNS_24BlockGemmPipelineVersionE1EDF16_DF16_Lb0ELb0ELb0ELi0ELb0EEELb1ELNS_25InMemoryDataOperationEnumE1ELi2ELNS_10TailNumberE10EEEvNT_8ArgumentE
; %bb.0:
	s_endpgm
	.section	.rodata,"a",@progbits
	.p2align	6, 0x0
	.amdhsa_kernel _ZN2ck27kernel_gemm_xdl_cshuffle_v3INS_28GridwiseGemm_xdl_cshuffle_v3INS_13tensor_layout4gemm8RowMajorENS3_11ColumnMajorES4_DF16_DF16_fDF16_DF16_NS_16tensor_operation12element_wise11PassThroughES8_S8_LNS6_6device18GemmSpecializationE4ELi64ELi32ELi32ELi256ELi8ELi8ELi16ELi16ELi2ELi1ENS_8SequenceIJLi32ELi2ELi1EEEENSB_IJLi1ELi0ELi2EEEESD_Li2ELi8ELi8ELb0ELi0ESC_SD_SD_Li2ELi8ELi8ELb0ELi0ELi1ELi1ENSB_IJLi1ELi16ELi1ELi4EEEELi4ELNS_26BlockGemmPipelineSchedulerE1ELNS_24BlockGemmPipelineVersionE1EDF16_DF16_Lb0ELb0ELb0ELi0ELb0EEELb1ELNS_25InMemoryDataOperationEnumE1ELi2ELNS_10TailNumberE10EEEvNT_8ArgumentE
		.amdhsa_group_segment_fixed_size 0
		.amdhsa_private_segment_fixed_size 0
		.amdhsa_kernarg_size 112
		.amdhsa_user_sgpr_count 2
		.amdhsa_user_sgpr_dispatch_ptr 0
		.amdhsa_user_sgpr_queue_ptr 0
		.amdhsa_user_sgpr_kernarg_segment_ptr 1
		.amdhsa_user_sgpr_dispatch_id 0
		.amdhsa_user_sgpr_kernarg_preload_length 0
		.amdhsa_user_sgpr_kernarg_preload_offset 0
		.amdhsa_user_sgpr_private_segment_size 0
		.amdhsa_uses_dynamic_stack 0
		.amdhsa_enable_private_segment 0
		.amdhsa_system_sgpr_workgroup_id_x 1
		.amdhsa_system_sgpr_workgroup_id_y 0
		.amdhsa_system_sgpr_workgroup_id_z 0
		.amdhsa_system_sgpr_workgroup_info 0
		.amdhsa_system_vgpr_workitem_id 0
		.amdhsa_next_free_vgpr 1
		.amdhsa_next_free_sgpr 0
		.amdhsa_accum_offset 4
		.amdhsa_reserve_vcc 0
		.amdhsa_float_round_mode_32 0
		.amdhsa_float_round_mode_16_64 0
		.amdhsa_float_denorm_mode_32 3
		.amdhsa_float_denorm_mode_16_64 3
		.amdhsa_dx10_clamp 1
		.amdhsa_ieee_mode 1
		.amdhsa_fp16_overflow 0
		.amdhsa_tg_split 0
		.amdhsa_exception_fp_ieee_invalid_op 0
		.amdhsa_exception_fp_denorm_src 0
		.amdhsa_exception_fp_ieee_div_zero 0
		.amdhsa_exception_fp_ieee_overflow 0
		.amdhsa_exception_fp_ieee_underflow 0
		.amdhsa_exception_fp_ieee_inexact 0
		.amdhsa_exception_int_div_zero 0
	.end_amdhsa_kernel
	.section	.text._ZN2ck27kernel_gemm_xdl_cshuffle_v3INS_28GridwiseGemm_xdl_cshuffle_v3INS_13tensor_layout4gemm8RowMajorENS3_11ColumnMajorES4_DF16_DF16_fDF16_DF16_NS_16tensor_operation12element_wise11PassThroughES8_S8_LNS6_6device18GemmSpecializationE4ELi64ELi32ELi32ELi256ELi8ELi8ELi16ELi16ELi2ELi1ENS_8SequenceIJLi32ELi2ELi1EEEENSB_IJLi1ELi0ELi2EEEESD_Li2ELi8ELi8ELb0ELi0ESC_SD_SD_Li2ELi8ELi8ELb0ELi0ELi1ELi1ENSB_IJLi1ELi16ELi1ELi4EEEELi4ELNS_26BlockGemmPipelineSchedulerE1ELNS_24BlockGemmPipelineVersionE1EDF16_DF16_Lb0ELb0ELb0ELi0ELb0EEELb1ELNS_25InMemoryDataOperationEnumE1ELi2ELNS_10TailNumberE10EEEvNT_8ArgumentE,"axG",@progbits,_ZN2ck27kernel_gemm_xdl_cshuffle_v3INS_28GridwiseGemm_xdl_cshuffle_v3INS_13tensor_layout4gemm8RowMajorENS3_11ColumnMajorES4_DF16_DF16_fDF16_DF16_NS_16tensor_operation12element_wise11PassThroughES8_S8_LNS6_6device18GemmSpecializationE4ELi64ELi32ELi32ELi256ELi8ELi8ELi16ELi16ELi2ELi1ENS_8SequenceIJLi32ELi2ELi1EEEENSB_IJLi1ELi0ELi2EEEESD_Li2ELi8ELi8ELb0ELi0ESC_SD_SD_Li2ELi8ELi8ELb0ELi0ELi1ELi1ENSB_IJLi1ELi16ELi1ELi4EEEELi4ELNS_26BlockGemmPipelineSchedulerE1ELNS_24BlockGemmPipelineVersionE1EDF16_DF16_Lb0ELb0ELb0ELi0ELb0EEELb1ELNS_25InMemoryDataOperationEnumE1ELi2ELNS_10TailNumberE10EEEvNT_8ArgumentE,comdat
.Lfunc_end6:
	.size	_ZN2ck27kernel_gemm_xdl_cshuffle_v3INS_28GridwiseGemm_xdl_cshuffle_v3INS_13tensor_layout4gemm8RowMajorENS3_11ColumnMajorES4_DF16_DF16_fDF16_DF16_NS_16tensor_operation12element_wise11PassThroughES8_S8_LNS6_6device18GemmSpecializationE4ELi64ELi32ELi32ELi256ELi8ELi8ELi16ELi16ELi2ELi1ENS_8SequenceIJLi32ELi2ELi1EEEENSB_IJLi1ELi0ELi2EEEESD_Li2ELi8ELi8ELb0ELi0ESC_SD_SD_Li2ELi8ELi8ELb0ELi0ELi1ELi1ENSB_IJLi1ELi16ELi1ELi4EEEELi4ELNS_26BlockGemmPipelineSchedulerE1ELNS_24BlockGemmPipelineVersionE1EDF16_DF16_Lb0ELb0ELb0ELi0ELb0EEELb1ELNS_25InMemoryDataOperationEnumE1ELi2ELNS_10TailNumberE10EEEvNT_8ArgumentE, .Lfunc_end6-_ZN2ck27kernel_gemm_xdl_cshuffle_v3INS_28GridwiseGemm_xdl_cshuffle_v3INS_13tensor_layout4gemm8RowMajorENS3_11ColumnMajorES4_DF16_DF16_fDF16_DF16_NS_16tensor_operation12element_wise11PassThroughES8_S8_LNS6_6device18GemmSpecializationE4ELi64ELi32ELi32ELi256ELi8ELi8ELi16ELi16ELi2ELi1ENS_8SequenceIJLi32ELi2ELi1EEEENSB_IJLi1ELi0ELi2EEEESD_Li2ELi8ELi8ELb0ELi0ESC_SD_SD_Li2ELi8ELi8ELb0ELi0ELi1ELi1ENSB_IJLi1ELi16ELi1ELi4EEEELi4ELNS_26BlockGemmPipelineSchedulerE1ELNS_24BlockGemmPipelineVersionE1EDF16_DF16_Lb0ELb0ELb0ELi0ELb0EEELb1ELNS_25InMemoryDataOperationEnumE1ELi2ELNS_10TailNumberE10EEEvNT_8ArgumentE
                                        ; -- End function
	.set _ZN2ck27kernel_gemm_xdl_cshuffle_v3INS_28GridwiseGemm_xdl_cshuffle_v3INS_13tensor_layout4gemm8RowMajorENS3_11ColumnMajorES4_DF16_DF16_fDF16_DF16_NS_16tensor_operation12element_wise11PassThroughES8_S8_LNS6_6device18GemmSpecializationE4ELi64ELi32ELi32ELi256ELi8ELi8ELi16ELi16ELi2ELi1ENS_8SequenceIJLi32ELi2ELi1EEEENSB_IJLi1ELi0ELi2EEEESD_Li2ELi8ELi8ELb0ELi0ESC_SD_SD_Li2ELi8ELi8ELb0ELi0ELi1ELi1ENSB_IJLi1ELi16ELi1ELi4EEEELi4ELNS_26BlockGemmPipelineSchedulerE1ELNS_24BlockGemmPipelineVersionE1EDF16_DF16_Lb0ELb0ELb0ELi0ELb0EEELb1ELNS_25InMemoryDataOperationEnumE1ELi2ELNS_10TailNumberE10EEEvNT_8ArgumentE.num_vgpr, 0
	.set _ZN2ck27kernel_gemm_xdl_cshuffle_v3INS_28GridwiseGemm_xdl_cshuffle_v3INS_13tensor_layout4gemm8RowMajorENS3_11ColumnMajorES4_DF16_DF16_fDF16_DF16_NS_16tensor_operation12element_wise11PassThroughES8_S8_LNS6_6device18GemmSpecializationE4ELi64ELi32ELi32ELi256ELi8ELi8ELi16ELi16ELi2ELi1ENS_8SequenceIJLi32ELi2ELi1EEEENSB_IJLi1ELi0ELi2EEEESD_Li2ELi8ELi8ELb0ELi0ESC_SD_SD_Li2ELi8ELi8ELb0ELi0ELi1ELi1ENSB_IJLi1ELi16ELi1ELi4EEEELi4ELNS_26BlockGemmPipelineSchedulerE1ELNS_24BlockGemmPipelineVersionE1EDF16_DF16_Lb0ELb0ELb0ELi0ELb0EEELb1ELNS_25InMemoryDataOperationEnumE1ELi2ELNS_10TailNumberE10EEEvNT_8ArgumentE.num_agpr, 0
	.set _ZN2ck27kernel_gemm_xdl_cshuffle_v3INS_28GridwiseGemm_xdl_cshuffle_v3INS_13tensor_layout4gemm8RowMajorENS3_11ColumnMajorES4_DF16_DF16_fDF16_DF16_NS_16tensor_operation12element_wise11PassThroughES8_S8_LNS6_6device18GemmSpecializationE4ELi64ELi32ELi32ELi256ELi8ELi8ELi16ELi16ELi2ELi1ENS_8SequenceIJLi32ELi2ELi1EEEENSB_IJLi1ELi0ELi2EEEESD_Li2ELi8ELi8ELb0ELi0ESC_SD_SD_Li2ELi8ELi8ELb0ELi0ELi1ELi1ENSB_IJLi1ELi16ELi1ELi4EEEELi4ELNS_26BlockGemmPipelineSchedulerE1ELNS_24BlockGemmPipelineVersionE1EDF16_DF16_Lb0ELb0ELb0ELi0ELb0EEELb1ELNS_25InMemoryDataOperationEnumE1ELi2ELNS_10TailNumberE10EEEvNT_8ArgumentE.numbered_sgpr, 0
	.set _ZN2ck27kernel_gemm_xdl_cshuffle_v3INS_28GridwiseGemm_xdl_cshuffle_v3INS_13tensor_layout4gemm8RowMajorENS3_11ColumnMajorES4_DF16_DF16_fDF16_DF16_NS_16tensor_operation12element_wise11PassThroughES8_S8_LNS6_6device18GemmSpecializationE4ELi64ELi32ELi32ELi256ELi8ELi8ELi16ELi16ELi2ELi1ENS_8SequenceIJLi32ELi2ELi1EEEENSB_IJLi1ELi0ELi2EEEESD_Li2ELi8ELi8ELb0ELi0ESC_SD_SD_Li2ELi8ELi8ELb0ELi0ELi1ELi1ENSB_IJLi1ELi16ELi1ELi4EEEELi4ELNS_26BlockGemmPipelineSchedulerE1ELNS_24BlockGemmPipelineVersionE1EDF16_DF16_Lb0ELb0ELb0ELi0ELb0EEELb1ELNS_25InMemoryDataOperationEnumE1ELi2ELNS_10TailNumberE10EEEvNT_8ArgumentE.num_named_barrier, 0
	.set _ZN2ck27kernel_gemm_xdl_cshuffle_v3INS_28GridwiseGemm_xdl_cshuffle_v3INS_13tensor_layout4gemm8RowMajorENS3_11ColumnMajorES4_DF16_DF16_fDF16_DF16_NS_16tensor_operation12element_wise11PassThroughES8_S8_LNS6_6device18GemmSpecializationE4ELi64ELi32ELi32ELi256ELi8ELi8ELi16ELi16ELi2ELi1ENS_8SequenceIJLi32ELi2ELi1EEEENSB_IJLi1ELi0ELi2EEEESD_Li2ELi8ELi8ELb0ELi0ESC_SD_SD_Li2ELi8ELi8ELb0ELi0ELi1ELi1ENSB_IJLi1ELi16ELi1ELi4EEEELi4ELNS_26BlockGemmPipelineSchedulerE1ELNS_24BlockGemmPipelineVersionE1EDF16_DF16_Lb0ELb0ELb0ELi0ELb0EEELb1ELNS_25InMemoryDataOperationEnumE1ELi2ELNS_10TailNumberE10EEEvNT_8ArgumentE.private_seg_size, 0
	.set _ZN2ck27kernel_gemm_xdl_cshuffle_v3INS_28GridwiseGemm_xdl_cshuffle_v3INS_13tensor_layout4gemm8RowMajorENS3_11ColumnMajorES4_DF16_DF16_fDF16_DF16_NS_16tensor_operation12element_wise11PassThroughES8_S8_LNS6_6device18GemmSpecializationE4ELi64ELi32ELi32ELi256ELi8ELi8ELi16ELi16ELi2ELi1ENS_8SequenceIJLi32ELi2ELi1EEEENSB_IJLi1ELi0ELi2EEEESD_Li2ELi8ELi8ELb0ELi0ESC_SD_SD_Li2ELi8ELi8ELb0ELi0ELi1ELi1ENSB_IJLi1ELi16ELi1ELi4EEEELi4ELNS_26BlockGemmPipelineSchedulerE1ELNS_24BlockGemmPipelineVersionE1EDF16_DF16_Lb0ELb0ELb0ELi0ELb0EEELb1ELNS_25InMemoryDataOperationEnumE1ELi2ELNS_10TailNumberE10EEEvNT_8ArgumentE.uses_vcc, 0
	.set _ZN2ck27kernel_gemm_xdl_cshuffle_v3INS_28GridwiseGemm_xdl_cshuffle_v3INS_13tensor_layout4gemm8RowMajorENS3_11ColumnMajorES4_DF16_DF16_fDF16_DF16_NS_16tensor_operation12element_wise11PassThroughES8_S8_LNS6_6device18GemmSpecializationE4ELi64ELi32ELi32ELi256ELi8ELi8ELi16ELi16ELi2ELi1ENS_8SequenceIJLi32ELi2ELi1EEEENSB_IJLi1ELi0ELi2EEEESD_Li2ELi8ELi8ELb0ELi0ESC_SD_SD_Li2ELi8ELi8ELb0ELi0ELi1ELi1ENSB_IJLi1ELi16ELi1ELi4EEEELi4ELNS_26BlockGemmPipelineSchedulerE1ELNS_24BlockGemmPipelineVersionE1EDF16_DF16_Lb0ELb0ELb0ELi0ELb0EEELb1ELNS_25InMemoryDataOperationEnumE1ELi2ELNS_10TailNumberE10EEEvNT_8ArgumentE.uses_flat_scratch, 0
	.set _ZN2ck27kernel_gemm_xdl_cshuffle_v3INS_28GridwiseGemm_xdl_cshuffle_v3INS_13tensor_layout4gemm8RowMajorENS3_11ColumnMajorES4_DF16_DF16_fDF16_DF16_NS_16tensor_operation12element_wise11PassThroughES8_S8_LNS6_6device18GemmSpecializationE4ELi64ELi32ELi32ELi256ELi8ELi8ELi16ELi16ELi2ELi1ENS_8SequenceIJLi32ELi2ELi1EEEENSB_IJLi1ELi0ELi2EEEESD_Li2ELi8ELi8ELb0ELi0ESC_SD_SD_Li2ELi8ELi8ELb0ELi0ELi1ELi1ENSB_IJLi1ELi16ELi1ELi4EEEELi4ELNS_26BlockGemmPipelineSchedulerE1ELNS_24BlockGemmPipelineVersionE1EDF16_DF16_Lb0ELb0ELb0ELi0ELb0EEELb1ELNS_25InMemoryDataOperationEnumE1ELi2ELNS_10TailNumberE10EEEvNT_8ArgumentE.has_dyn_sized_stack, 0
	.set _ZN2ck27kernel_gemm_xdl_cshuffle_v3INS_28GridwiseGemm_xdl_cshuffle_v3INS_13tensor_layout4gemm8RowMajorENS3_11ColumnMajorES4_DF16_DF16_fDF16_DF16_NS_16tensor_operation12element_wise11PassThroughES8_S8_LNS6_6device18GemmSpecializationE4ELi64ELi32ELi32ELi256ELi8ELi8ELi16ELi16ELi2ELi1ENS_8SequenceIJLi32ELi2ELi1EEEENSB_IJLi1ELi0ELi2EEEESD_Li2ELi8ELi8ELb0ELi0ESC_SD_SD_Li2ELi8ELi8ELb0ELi0ELi1ELi1ENSB_IJLi1ELi16ELi1ELi4EEEELi4ELNS_26BlockGemmPipelineSchedulerE1ELNS_24BlockGemmPipelineVersionE1EDF16_DF16_Lb0ELb0ELb0ELi0ELb0EEELb1ELNS_25InMemoryDataOperationEnumE1ELi2ELNS_10TailNumberE10EEEvNT_8ArgumentE.has_recursion, 0
	.set _ZN2ck27kernel_gemm_xdl_cshuffle_v3INS_28GridwiseGemm_xdl_cshuffle_v3INS_13tensor_layout4gemm8RowMajorENS3_11ColumnMajorES4_DF16_DF16_fDF16_DF16_NS_16tensor_operation12element_wise11PassThroughES8_S8_LNS6_6device18GemmSpecializationE4ELi64ELi32ELi32ELi256ELi8ELi8ELi16ELi16ELi2ELi1ENS_8SequenceIJLi32ELi2ELi1EEEENSB_IJLi1ELi0ELi2EEEESD_Li2ELi8ELi8ELb0ELi0ESC_SD_SD_Li2ELi8ELi8ELb0ELi0ELi1ELi1ENSB_IJLi1ELi16ELi1ELi4EEEELi4ELNS_26BlockGemmPipelineSchedulerE1ELNS_24BlockGemmPipelineVersionE1EDF16_DF16_Lb0ELb0ELb0ELi0ELb0EEELb1ELNS_25InMemoryDataOperationEnumE1ELi2ELNS_10TailNumberE10EEEvNT_8ArgumentE.has_indirect_call, 0
	.section	.AMDGPU.csdata,"",@progbits
; Kernel info:
; codeLenInByte = 4
; TotalNumSgprs: 6
; NumVgprs: 0
; NumAgprs: 0
; TotalNumVgprs: 0
; ScratchSize: 0
; MemoryBound: 0
; FloatMode: 240
; IeeeMode: 1
; LDSByteSize: 0 bytes/workgroup (compile time only)
; SGPRBlocks: 0
; VGPRBlocks: 0
; NumSGPRsForWavesPerEU: 6
; NumVGPRsForWavesPerEU: 1
; AccumOffset: 4
; Occupancy: 8
; WaveLimiterHint : 0
; COMPUTE_PGM_RSRC2:SCRATCH_EN: 0
; COMPUTE_PGM_RSRC2:USER_SGPR: 2
; COMPUTE_PGM_RSRC2:TRAP_HANDLER: 0
; COMPUTE_PGM_RSRC2:TGID_X_EN: 1
; COMPUTE_PGM_RSRC2:TGID_Y_EN: 0
; COMPUTE_PGM_RSRC2:TGID_Z_EN: 0
; COMPUTE_PGM_RSRC2:TIDIG_COMP_CNT: 0
; COMPUTE_PGM_RSRC3_GFX90A:ACCUM_OFFSET: 0
; COMPUTE_PGM_RSRC3_GFX90A:TG_SPLIT: 0
	.section	.text._ZN2ck27kernel_gemm_xdl_cshuffle_v3INS_28GridwiseGemm_xdl_cshuffle_v3INS_13tensor_layout4gemm8RowMajorENS3_11ColumnMajorES4_DF16_DF16_fDF16_DF16_NS_16tensor_operation12element_wise11PassThroughES8_S8_LNS6_6device18GemmSpecializationE4ELi64ELi32ELi32ELi256ELi8ELi8ELi16ELi16ELi2ELi1ENS_8SequenceIJLi32ELi2ELi1EEEENSB_IJLi1ELi0ELi2EEEESD_Li2ELi8ELi8ELb0ELi0ESC_SD_SD_Li2ELi8ELi8ELb0ELi0ELi1ELi1ENSB_IJLi1ELi16ELi1ELi4EEEELi4ELNS_26BlockGemmPipelineSchedulerE1ELNS_24BlockGemmPipelineVersionE1EDF16_DF16_Lb0ELb0ELb0ELi0ELb0EEELb1ELNS_25InMemoryDataOperationEnumE0ELi2ELNS_10TailNumberE2EEEvNT_8ArgumentE,"axG",@progbits,_ZN2ck27kernel_gemm_xdl_cshuffle_v3INS_28GridwiseGemm_xdl_cshuffle_v3INS_13tensor_layout4gemm8RowMajorENS3_11ColumnMajorES4_DF16_DF16_fDF16_DF16_NS_16tensor_operation12element_wise11PassThroughES8_S8_LNS6_6device18GemmSpecializationE4ELi64ELi32ELi32ELi256ELi8ELi8ELi16ELi16ELi2ELi1ENS_8SequenceIJLi32ELi2ELi1EEEENSB_IJLi1ELi0ELi2EEEESD_Li2ELi8ELi8ELb0ELi0ESC_SD_SD_Li2ELi8ELi8ELb0ELi0ELi1ELi1ENSB_IJLi1ELi16ELi1ELi4EEEELi4ELNS_26BlockGemmPipelineSchedulerE1ELNS_24BlockGemmPipelineVersionE1EDF16_DF16_Lb0ELb0ELb0ELi0ELb0EEELb1ELNS_25InMemoryDataOperationEnumE0ELi2ELNS_10TailNumberE2EEEvNT_8ArgumentE,comdat
	.protected	_ZN2ck27kernel_gemm_xdl_cshuffle_v3INS_28GridwiseGemm_xdl_cshuffle_v3INS_13tensor_layout4gemm8RowMajorENS3_11ColumnMajorES4_DF16_DF16_fDF16_DF16_NS_16tensor_operation12element_wise11PassThroughES8_S8_LNS6_6device18GemmSpecializationE4ELi64ELi32ELi32ELi256ELi8ELi8ELi16ELi16ELi2ELi1ENS_8SequenceIJLi32ELi2ELi1EEEENSB_IJLi1ELi0ELi2EEEESD_Li2ELi8ELi8ELb0ELi0ESC_SD_SD_Li2ELi8ELi8ELb0ELi0ELi1ELi1ENSB_IJLi1ELi16ELi1ELi4EEEELi4ELNS_26BlockGemmPipelineSchedulerE1ELNS_24BlockGemmPipelineVersionE1EDF16_DF16_Lb0ELb0ELb0ELi0ELb0EEELb1ELNS_25InMemoryDataOperationEnumE0ELi2ELNS_10TailNumberE2EEEvNT_8ArgumentE ; -- Begin function _ZN2ck27kernel_gemm_xdl_cshuffle_v3INS_28GridwiseGemm_xdl_cshuffle_v3INS_13tensor_layout4gemm8RowMajorENS3_11ColumnMajorES4_DF16_DF16_fDF16_DF16_NS_16tensor_operation12element_wise11PassThroughES8_S8_LNS6_6device18GemmSpecializationE4ELi64ELi32ELi32ELi256ELi8ELi8ELi16ELi16ELi2ELi1ENS_8SequenceIJLi32ELi2ELi1EEEENSB_IJLi1ELi0ELi2EEEESD_Li2ELi8ELi8ELb0ELi0ESC_SD_SD_Li2ELi8ELi8ELb0ELi0ELi1ELi1ENSB_IJLi1ELi16ELi1ELi4EEEELi4ELNS_26BlockGemmPipelineSchedulerE1ELNS_24BlockGemmPipelineVersionE1EDF16_DF16_Lb0ELb0ELb0ELi0ELb0EEELb1ELNS_25InMemoryDataOperationEnumE0ELi2ELNS_10TailNumberE2EEEvNT_8ArgumentE
	.globl	_ZN2ck27kernel_gemm_xdl_cshuffle_v3INS_28GridwiseGemm_xdl_cshuffle_v3INS_13tensor_layout4gemm8RowMajorENS3_11ColumnMajorES4_DF16_DF16_fDF16_DF16_NS_16tensor_operation12element_wise11PassThroughES8_S8_LNS6_6device18GemmSpecializationE4ELi64ELi32ELi32ELi256ELi8ELi8ELi16ELi16ELi2ELi1ENS_8SequenceIJLi32ELi2ELi1EEEENSB_IJLi1ELi0ELi2EEEESD_Li2ELi8ELi8ELb0ELi0ESC_SD_SD_Li2ELi8ELi8ELb0ELi0ELi1ELi1ENSB_IJLi1ELi16ELi1ELi4EEEELi4ELNS_26BlockGemmPipelineSchedulerE1ELNS_24BlockGemmPipelineVersionE1EDF16_DF16_Lb0ELb0ELb0ELi0ELb0EEELb1ELNS_25InMemoryDataOperationEnumE0ELi2ELNS_10TailNumberE2EEEvNT_8ArgumentE
	.p2align	8
	.type	_ZN2ck27kernel_gemm_xdl_cshuffle_v3INS_28GridwiseGemm_xdl_cshuffle_v3INS_13tensor_layout4gemm8RowMajorENS3_11ColumnMajorES4_DF16_DF16_fDF16_DF16_NS_16tensor_operation12element_wise11PassThroughES8_S8_LNS6_6device18GemmSpecializationE4ELi64ELi32ELi32ELi256ELi8ELi8ELi16ELi16ELi2ELi1ENS_8SequenceIJLi32ELi2ELi1EEEENSB_IJLi1ELi0ELi2EEEESD_Li2ELi8ELi8ELb0ELi0ESC_SD_SD_Li2ELi8ELi8ELb0ELi0ELi1ELi1ENSB_IJLi1ELi16ELi1ELi4EEEELi4ELNS_26BlockGemmPipelineSchedulerE1ELNS_24BlockGemmPipelineVersionE1EDF16_DF16_Lb0ELb0ELb0ELi0ELb0EEELb1ELNS_25InMemoryDataOperationEnumE0ELi2ELNS_10TailNumberE2EEEvNT_8ArgumentE,@function
_ZN2ck27kernel_gemm_xdl_cshuffle_v3INS_28GridwiseGemm_xdl_cshuffle_v3INS_13tensor_layout4gemm8RowMajorENS3_11ColumnMajorES4_DF16_DF16_fDF16_DF16_NS_16tensor_operation12element_wise11PassThroughES8_S8_LNS6_6device18GemmSpecializationE4ELi64ELi32ELi32ELi256ELi8ELi8ELi16ELi16ELi2ELi1ENS_8SequenceIJLi32ELi2ELi1EEEENSB_IJLi1ELi0ELi2EEEESD_Li2ELi8ELi8ELb0ELi0ESC_SD_SD_Li2ELi8ELi8ELb0ELi0ELi1ELi1ENSB_IJLi1ELi16ELi1ELi4EEEELi4ELNS_26BlockGemmPipelineSchedulerE1ELNS_24BlockGemmPipelineVersionE1EDF16_DF16_Lb0ELb0ELb0ELi0ELb0EEELb1ELNS_25InMemoryDataOperationEnumE0ELi2ELNS_10TailNumberE2EEEvNT_8ArgumentE: ; @_ZN2ck27kernel_gemm_xdl_cshuffle_v3INS_28GridwiseGemm_xdl_cshuffle_v3INS_13tensor_layout4gemm8RowMajorENS3_11ColumnMajorES4_DF16_DF16_fDF16_DF16_NS_16tensor_operation12element_wise11PassThroughES8_S8_LNS6_6device18GemmSpecializationE4ELi64ELi32ELi32ELi256ELi8ELi8ELi16ELi16ELi2ELi1ENS_8SequenceIJLi32ELi2ELi1EEEENSB_IJLi1ELi0ELi2EEEESD_Li2ELi8ELi8ELb0ELi0ESC_SD_SD_Li2ELi8ELi8ELb0ELi0ELi1ELi1ENSB_IJLi1ELi16ELi1ELi4EEEELi4ELNS_26BlockGemmPipelineSchedulerE1ELNS_24BlockGemmPipelineVersionE1EDF16_DF16_Lb0ELb0ELb0ELi0ELb0EEELb1ELNS_25InMemoryDataOperationEnumE0ELi2ELNS_10TailNumberE2EEEvNT_8ArgumentE
; %bb.0:
	s_endpgm
	.section	.rodata,"a",@progbits
	.p2align	6, 0x0
	.amdhsa_kernel _ZN2ck27kernel_gemm_xdl_cshuffle_v3INS_28GridwiseGemm_xdl_cshuffle_v3INS_13tensor_layout4gemm8RowMajorENS3_11ColumnMajorES4_DF16_DF16_fDF16_DF16_NS_16tensor_operation12element_wise11PassThroughES8_S8_LNS6_6device18GemmSpecializationE4ELi64ELi32ELi32ELi256ELi8ELi8ELi16ELi16ELi2ELi1ENS_8SequenceIJLi32ELi2ELi1EEEENSB_IJLi1ELi0ELi2EEEESD_Li2ELi8ELi8ELb0ELi0ESC_SD_SD_Li2ELi8ELi8ELb0ELi0ELi1ELi1ENSB_IJLi1ELi16ELi1ELi4EEEELi4ELNS_26BlockGemmPipelineSchedulerE1ELNS_24BlockGemmPipelineVersionE1EDF16_DF16_Lb0ELb0ELb0ELi0ELb0EEELb1ELNS_25InMemoryDataOperationEnumE0ELi2ELNS_10TailNumberE2EEEvNT_8ArgumentE
		.amdhsa_group_segment_fixed_size 0
		.amdhsa_private_segment_fixed_size 0
		.amdhsa_kernarg_size 112
		.amdhsa_user_sgpr_count 2
		.amdhsa_user_sgpr_dispatch_ptr 0
		.amdhsa_user_sgpr_queue_ptr 0
		.amdhsa_user_sgpr_kernarg_segment_ptr 1
		.amdhsa_user_sgpr_dispatch_id 0
		.amdhsa_user_sgpr_kernarg_preload_length 0
		.amdhsa_user_sgpr_kernarg_preload_offset 0
		.amdhsa_user_sgpr_private_segment_size 0
		.amdhsa_uses_dynamic_stack 0
		.amdhsa_enable_private_segment 0
		.amdhsa_system_sgpr_workgroup_id_x 1
		.amdhsa_system_sgpr_workgroup_id_y 0
		.amdhsa_system_sgpr_workgroup_id_z 0
		.amdhsa_system_sgpr_workgroup_info 0
		.amdhsa_system_vgpr_workitem_id 0
		.amdhsa_next_free_vgpr 1
		.amdhsa_next_free_sgpr 0
		.amdhsa_accum_offset 4
		.amdhsa_reserve_vcc 0
		.amdhsa_float_round_mode_32 0
		.amdhsa_float_round_mode_16_64 0
		.amdhsa_float_denorm_mode_32 3
		.amdhsa_float_denorm_mode_16_64 3
		.amdhsa_dx10_clamp 1
		.amdhsa_ieee_mode 1
		.amdhsa_fp16_overflow 0
		.amdhsa_tg_split 0
		.amdhsa_exception_fp_ieee_invalid_op 0
		.amdhsa_exception_fp_denorm_src 0
		.amdhsa_exception_fp_ieee_div_zero 0
		.amdhsa_exception_fp_ieee_overflow 0
		.amdhsa_exception_fp_ieee_underflow 0
		.amdhsa_exception_fp_ieee_inexact 0
		.amdhsa_exception_int_div_zero 0
	.end_amdhsa_kernel
	.section	.text._ZN2ck27kernel_gemm_xdl_cshuffle_v3INS_28GridwiseGemm_xdl_cshuffle_v3INS_13tensor_layout4gemm8RowMajorENS3_11ColumnMajorES4_DF16_DF16_fDF16_DF16_NS_16tensor_operation12element_wise11PassThroughES8_S8_LNS6_6device18GemmSpecializationE4ELi64ELi32ELi32ELi256ELi8ELi8ELi16ELi16ELi2ELi1ENS_8SequenceIJLi32ELi2ELi1EEEENSB_IJLi1ELi0ELi2EEEESD_Li2ELi8ELi8ELb0ELi0ESC_SD_SD_Li2ELi8ELi8ELb0ELi0ELi1ELi1ENSB_IJLi1ELi16ELi1ELi4EEEELi4ELNS_26BlockGemmPipelineSchedulerE1ELNS_24BlockGemmPipelineVersionE1EDF16_DF16_Lb0ELb0ELb0ELi0ELb0EEELb1ELNS_25InMemoryDataOperationEnumE0ELi2ELNS_10TailNumberE2EEEvNT_8ArgumentE,"axG",@progbits,_ZN2ck27kernel_gemm_xdl_cshuffle_v3INS_28GridwiseGemm_xdl_cshuffle_v3INS_13tensor_layout4gemm8RowMajorENS3_11ColumnMajorES4_DF16_DF16_fDF16_DF16_NS_16tensor_operation12element_wise11PassThroughES8_S8_LNS6_6device18GemmSpecializationE4ELi64ELi32ELi32ELi256ELi8ELi8ELi16ELi16ELi2ELi1ENS_8SequenceIJLi32ELi2ELi1EEEENSB_IJLi1ELi0ELi2EEEESD_Li2ELi8ELi8ELb0ELi0ESC_SD_SD_Li2ELi8ELi8ELb0ELi0ELi1ELi1ENSB_IJLi1ELi16ELi1ELi4EEEELi4ELNS_26BlockGemmPipelineSchedulerE1ELNS_24BlockGemmPipelineVersionE1EDF16_DF16_Lb0ELb0ELb0ELi0ELb0EEELb1ELNS_25InMemoryDataOperationEnumE0ELi2ELNS_10TailNumberE2EEEvNT_8ArgumentE,comdat
.Lfunc_end7:
	.size	_ZN2ck27kernel_gemm_xdl_cshuffle_v3INS_28GridwiseGemm_xdl_cshuffle_v3INS_13tensor_layout4gemm8RowMajorENS3_11ColumnMajorES4_DF16_DF16_fDF16_DF16_NS_16tensor_operation12element_wise11PassThroughES8_S8_LNS6_6device18GemmSpecializationE4ELi64ELi32ELi32ELi256ELi8ELi8ELi16ELi16ELi2ELi1ENS_8SequenceIJLi32ELi2ELi1EEEENSB_IJLi1ELi0ELi2EEEESD_Li2ELi8ELi8ELb0ELi0ESC_SD_SD_Li2ELi8ELi8ELb0ELi0ELi1ELi1ENSB_IJLi1ELi16ELi1ELi4EEEELi4ELNS_26BlockGemmPipelineSchedulerE1ELNS_24BlockGemmPipelineVersionE1EDF16_DF16_Lb0ELb0ELb0ELi0ELb0EEELb1ELNS_25InMemoryDataOperationEnumE0ELi2ELNS_10TailNumberE2EEEvNT_8ArgumentE, .Lfunc_end7-_ZN2ck27kernel_gemm_xdl_cshuffle_v3INS_28GridwiseGemm_xdl_cshuffle_v3INS_13tensor_layout4gemm8RowMajorENS3_11ColumnMajorES4_DF16_DF16_fDF16_DF16_NS_16tensor_operation12element_wise11PassThroughES8_S8_LNS6_6device18GemmSpecializationE4ELi64ELi32ELi32ELi256ELi8ELi8ELi16ELi16ELi2ELi1ENS_8SequenceIJLi32ELi2ELi1EEEENSB_IJLi1ELi0ELi2EEEESD_Li2ELi8ELi8ELb0ELi0ESC_SD_SD_Li2ELi8ELi8ELb0ELi0ELi1ELi1ENSB_IJLi1ELi16ELi1ELi4EEEELi4ELNS_26BlockGemmPipelineSchedulerE1ELNS_24BlockGemmPipelineVersionE1EDF16_DF16_Lb0ELb0ELb0ELi0ELb0EEELb1ELNS_25InMemoryDataOperationEnumE0ELi2ELNS_10TailNumberE2EEEvNT_8ArgumentE
                                        ; -- End function
	.set _ZN2ck27kernel_gemm_xdl_cshuffle_v3INS_28GridwiseGemm_xdl_cshuffle_v3INS_13tensor_layout4gemm8RowMajorENS3_11ColumnMajorES4_DF16_DF16_fDF16_DF16_NS_16tensor_operation12element_wise11PassThroughES8_S8_LNS6_6device18GemmSpecializationE4ELi64ELi32ELi32ELi256ELi8ELi8ELi16ELi16ELi2ELi1ENS_8SequenceIJLi32ELi2ELi1EEEENSB_IJLi1ELi0ELi2EEEESD_Li2ELi8ELi8ELb0ELi0ESC_SD_SD_Li2ELi8ELi8ELb0ELi0ELi1ELi1ENSB_IJLi1ELi16ELi1ELi4EEEELi4ELNS_26BlockGemmPipelineSchedulerE1ELNS_24BlockGemmPipelineVersionE1EDF16_DF16_Lb0ELb0ELb0ELi0ELb0EEELb1ELNS_25InMemoryDataOperationEnumE0ELi2ELNS_10TailNumberE2EEEvNT_8ArgumentE.num_vgpr, 0
	.set _ZN2ck27kernel_gemm_xdl_cshuffle_v3INS_28GridwiseGemm_xdl_cshuffle_v3INS_13tensor_layout4gemm8RowMajorENS3_11ColumnMajorES4_DF16_DF16_fDF16_DF16_NS_16tensor_operation12element_wise11PassThroughES8_S8_LNS6_6device18GemmSpecializationE4ELi64ELi32ELi32ELi256ELi8ELi8ELi16ELi16ELi2ELi1ENS_8SequenceIJLi32ELi2ELi1EEEENSB_IJLi1ELi0ELi2EEEESD_Li2ELi8ELi8ELb0ELi0ESC_SD_SD_Li2ELi8ELi8ELb0ELi0ELi1ELi1ENSB_IJLi1ELi16ELi1ELi4EEEELi4ELNS_26BlockGemmPipelineSchedulerE1ELNS_24BlockGemmPipelineVersionE1EDF16_DF16_Lb0ELb0ELb0ELi0ELb0EEELb1ELNS_25InMemoryDataOperationEnumE0ELi2ELNS_10TailNumberE2EEEvNT_8ArgumentE.num_agpr, 0
	.set _ZN2ck27kernel_gemm_xdl_cshuffle_v3INS_28GridwiseGemm_xdl_cshuffle_v3INS_13tensor_layout4gemm8RowMajorENS3_11ColumnMajorES4_DF16_DF16_fDF16_DF16_NS_16tensor_operation12element_wise11PassThroughES8_S8_LNS6_6device18GemmSpecializationE4ELi64ELi32ELi32ELi256ELi8ELi8ELi16ELi16ELi2ELi1ENS_8SequenceIJLi32ELi2ELi1EEEENSB_IJLi1ELi0ELi2EEEESD_Li2ELi8ELi8ELb0ELi0ESC_SD_SD_Li2ELi8ELi8ELb0ELi0ELi1ELi1ENSB_IJLi1ELi16ELi1ELi4EEEELi4ELNS_26BlockGemmPipelineSchedulerE1ELNS_24BlockGemmPipelineVersionE1EDF16_DF16_Lb0ELb0ELb0ELi0ELb0EEELb1ELNS_25InMemoryDataOperationEnumE0ELi2ELNS_10TailNumberE2EEEvNT_8ArgumentE.numbered_sgpr, 0
	.set _ZN2ck27kernel_gemm_xdl_cshuffle_v3INS_28GridwiseGemm_xdl_cshuffle_v3INS_13tensor_layout4gemm8RowMajorENS3_11ColumnMajorES4_DF16_DF16_fDF16_DF16_NS_16tensor_operation12element_wise11PassThroughES8_S8_LNS6_6device18GemmSpecializationE4ELi64ELi32ELi32ELi256ELi8ELi8ELi16ELi16ELi2ELi1ENS_8SequenceIJLi32ELi2ELi1EEEENSB_IJLi1ELi0ELi2EEEESD_Li2ELi8ELi8ELb0ELi0ESC_SD_SD_Li2ELi8ELi8ELb0ELi0ELi1ELi1ENSB_IJLi1ELi16ELi1ELi4EEEELi4ELNS_26BlockGemmPipelineSchedulerE1ELNS_24BlockGemmPipelineVersionE1EDF16_DF16_Lb0ELb0ELb0ELi0ELb0EEELb1ELNS_25InMemoryDataOperationEnumE0ELi2ELNS_10TailNumberE2EEEvNT_8ArgumentE.num_named_barrier, 0
	.set _ZN2ck27kernel_gemm_xdl_cshuffle_v3INS_28GridwiseGemm_xdl_cshuffle_v3INS_13tensor_layout4gemm8RowMajorENS3_11ColumnMajorES4_DF16_DF16_fDF16_DF16_NS_16tensor_operation12element_wise11PassThroughES8_S8_LNS6_6device18GemmSpecializationE4ELi64ELi32ELi32ELi256ELi8ELi8ELi16ELi16ELi2ELi1ENS_8SequenceIJLi32ELi2ELi1EEEENSB_IJLi1ELi0ELi2EEEESD_Li2ELi8ELi8ELb0ELi0ESC_SD_SD_Li2ELi8ELi8ELb0ELi0ELi1ELi1ENSB_IJLi1ELi16ELi1ELi4EEEELi4ELNS_26BlockGemmPipelineSchedulerE1ELNS_24BlockGemmPipelineVersionE1EDF16_DF16_Lb0ELb0ELb0ELi0ELb0EEELb1ELNS_25InMemoryDataOperationEnumE0ELi2ELNS_10TailNumberE2EEEvNT_8ArgumentE.private_seg_size, 0
	.set _ZN2ck27kernel_gemm_xdl_cshuffle_v3INS_28GridwiseGemm_xdl_cshuffle_v3INS_13tensor_layout4gemm8RowMajorENS3_11ColumnMajorES4_DF16_DF16_fDF16_DF16_NS_16tensor_operation12element_wise11PassThroughES8_S8_LNS6_6device18GemmSpecializationE4ELi64ELi32ELi32ELi256ELi8ELi8ELi16ELi16ELi2ELi1ENS_8SequenceIJLi32ELi2ELi1EEEENSB_IJLi1ELi0ELi2EEEESD_Li2ELi8ELi8ELb0ELi0ESC_SD_SD_Li2ELi8ELi8ELb0ELi0ELi1ELi1ENSB_IJLi1ELi16ELi1ELi4EEEELi4ELNS_26BlockGemmPipelineSchedulerE1ELNS_24BlockGemmPipelineVersionE1EDF16_DF16_Lb0ELb0ELb0ELi0ELb0EEELb1ELNS_25InMemoryDataOperationEnumE0ELi2ELNS_10TailNumberE2EEEvNT_8ArgumentE.uses_vcc, 0
	.set _ZN2ck27kernel_gemm_xdl_cshuffle_v3INS_28GridwiseGemm_xdl_cshuffle_v3INS_13tensor_layout4gemm8RowMajorENS3_11ColumnMajorES4_DF16_DF16_fDF16_DF16_NS_16tensor_operation12element_wise11PassThroughES8_S8_LNS6_6device18GemmSpecializationE4ELi64ELi32ELi32ELi256ELi8ELi8ELi16ELi16ELi2ELi1ENS_8SequenceIJLi32ELi2ELi1EEEENSB_IJLi1ELi0ELi2EEEESD_Li2ELi8ELi8ELb0ELi0ESC_SD_SD_Li2ELi8ELi8ELb0ELi0ELi1ELi1ENSB_IJLi1ELi16ELi1ELi4EEEELi4ELNS_26BlockGemmPipelineSchedulerE1ELNS_24BlockGemmPipelineVersionE1EDF16_DF16_Lb0ELb0ELb0ELi0ELb0EEELb1ELNS_25InMemoryDataOperationEnumE0ELi2ELNS_10TailNumberE2EEEvNT_8ArgumentE.uses_flat_scratch, 0
	.set _ZN2ck27kernel_gemm_xdl_cshuffle_v3INS_28GridwiseGemm_xdl_cshuffle_v3INS_13tensor_layout4gemm8RowMajorENS3_11ColumnMajorES4_DF16_DF16_fDF16_DF16_NS_16tensor_operation12element_wise11PassThroughES8_S8_LNS6_6device18GemmSpecializationE4ELi64ELi32ELi32ELi256ELi8ELi8ELi16ELi16ELi2ELi1ENS_8SequenceIJLi32ELi2ELi1EEEENSB_IJLi1ELi0ELi2EEEESD_Li2ELi8ELi8ELb0ELi0ESC_SD_SD_Li2ELi8ELi8ELb0ELi0ELi1ELi1ENSB_IJLi1ELi16ELi1ELi4EEEELi4ELNS_26BlockGemmPipelineSchedulerE1ELNS_24BlockGemmPipelineVersionE1EDF16_DF16_Lb0ELb0ELb0ELi0ELb0EEELb1ELNS_25InMemoryDataOperationEnumE0ELi2ELNS_10TailNumberE2EEEvNT_8ArgumentE.has_dyn_sized_stack, 0
	.set _ZN2ck27kernel_gemm_xdl_cshuffle_v3INS_28GridwiseGemm_xdl_cshuffle_v3INS_13tensor_layout4gemm8RowMajorENS3_11ColumnMajorES4_DF16_DF16_fDF16_DF16_NS_16tensor_operation12element_wise11PassThroughES8_S8_LNS6_6device18GemmSpecializationE4ELi64ELi32ELi32ELi256ELi8ELi8ELi16ELi16ELi2ELi1ENS_8SequenceIJLi32ELi2ELi1EEEENSB_IJLi1ELi0ELi2EEEESD_Li2ELi8ELi8ELb0ELi0ESC_SD_SD_Li2ELi8ELi8ELb0ELi0ELi1ELi1ENSB_IJLi1ELi16ELi1ELi4EEEELi4ELNS_26BlockGemmPipelineSchedulerE1ELNS_24BlockGemmPipelineVersionE1EDF16_DF16_Lb0ELb0ELb0ELi0ELb0EEELb1ELNS_25InMemoryDataOperationEnumE0ELi2ELNS_10TailNumberE2EEEvNT_8ArgumentE.has_recursion, 0
	.set _ZN2ck27kernel_gemm_xdl_cshuffle_v3INS_28GridwiseGemm_xdl_cshuffle_v3INS_13tensor_layout4gemm8RowMajorENS3_11ColumnMajorES4_DF16_DF16_fDF16_DF16_NS_16tensor_operation12element_wise11PassThroughES8_S8_LNS6_6device18GemmSpecializationE4ELi64ELi32ELi32ELi256ELi8ELi8ELi16ELi16ELi2ELi1ENS_8SequenceIJLi32ELi2ELi1EEEENSB_IJLi1ELi0ELi2EEEESD_Li2ELi8ELi8ELb0ELi0ESC_SD_SD_Li2ELi8ELi8ELb0ELi0ELi1ELi1ENSB_IJLi1ELi16ELi1ELi4EEEELi4ELNS_26BlockGemmPipelineSchedulerE1ELNS_24BlockGemmPipelineVersionE1EDF16_DF16_Lb0ELb0ELb0ELi0ELb0EEELb1ELNS_25InMemoryDataOperationEnumE0ELi2ELNS_10TailNumberE2EEEvNT_8ArgumentE.has_indirect_call, 0
	.section	.AMDGPU.csdata,"",@progbits
; Kernel info:
; codeLenInByte = 4
; TotalNumSgprs: 6
; NumVgprs: 0
; NumAgprs: 0
; TotalNumVgprs: 0
; ScratchSize: 0
; MemoryBound: 0
; FloatMode: 240
; IeeeMode: 1
; LDSByteSize: 0 bytes/workgroup (compile time only)
; SGPRBlocks: 0
; VGPRBlocks: 0
; NumSGPRsForWavesPerEU: 6
; NumVGPRsForWavesPerEU: 1
; AccumOffset: 4
; Occupancy: 8
; WaveLimiterHint : 0
; COMPUTE_PGM_RSRC2:SCRATCH_EN: 0
; COMPUTE_PGM_RSRC2:USER_SGPR: 2
; COMPUTE_PGM_RSRC2:TRAP_HANDLER: 0
; COMPUTE_PGM_RSRC2:TGID_X_EN: 1
; COMPUTE_PGM_RSRC2:TGID_Y_EN: 0
; COMPUTE_PGM_RSRC2:TGID_Z_EN: 0
; COMPUTE_PGM_RSRC2:TIDIG_COMP_CNT: 0
; COMPUTE_PGM_RSRC3_GFX90A:ACCUM_OFFSET: 0
; COMPUTE_PGM_RSRC3_GFX90A:TG_SPLIT: 0
	.section	.text._ZN2ck27kernel_gemm_xdl_cshuffle_v3INS_28GridwiseGemm_xdl_cshuffle_v3INS_13tensor_layout4gemm8RowMajorENS3_11ColumnMajorES4_DF16_DF16_fDF16_DF16_NS_16tensor_operation12element_wise11PassThroughES8_S8_LNS6_6device18GemmSpecializationE4ELi64ELi32ELi32ELi256ELi8ELi8ELi16ELi16ELi2ELi1ENS_8SequenceIJLi32ELi2ELi1EEEENSB_IJLi1ELi0ELi2EEEESD_Li2ELi8ELi8ELb0ELi0ESC_SD_SD_Li2ELi8ELi8ELb0ELi0ELi1ELi1ENSB_IJLi1ELi16ELi1ELi4EEEELi4ELNS_26BlockGemmPipelineSchedulerE1ELNS_24BlockGemmPipelineVersionE1EDF16_DF16_Lb0ELb0ELb0ELi0ELb0EEELb1ELNS_25InMemoryDataOperationEnumE0ELi2ELNS_10TailNumberE10EEEvNT_8ArgumentE,"axG",@progbits,_ZN2ck27kernel_gemm_xdl_cshuffle_v3INS_28GridwiseGemm_xdl_cshuffle_v3INS_13tensor_layout4gemm8RowMajorENS3_11ColumnMajorES4_DF16_DF16_fDF16_DF16_NS_16tensor_operation12element_wise11PassThroughES8_S8_LNS6_6device18GemmSpecializationE4ELi64ELi32ELi32ELi256ELi8ELi8ELi16ELi16ELi2ELi1ENS_8SequenceIJLi32ELi2ELi1EEEENSB_IJLi1ELi0ELi2EEEESD_Li2ELi8ELi8ELb0ELi0ESC_SD_SD_Li2ELi8ELi8ELb0ELi0ELi1ELi1ENSB_IJLi1ELi16ELi1ELi4EEEELi4ELNS_26BlockGemmPipelineSchedulerE1ELNS_24BlockGemmPipelineVersionE1EDF16_DF16_Lb0ELb0ELb0ELi0ELb0EEELb1ELNS_25InMemoryDataOperationEnumE0ELi2ELNS_10TailNumberE10EEEvNT_8ArgumentE,comdat
	.protected	_ZN2ck27kernel_gemm_xdl_cshuffle_v3INS_28GridwiseGemm_xdl_cshuffle_v3INS_13tensor_layout4gemm8RowMajorENS3_11ColumnMajorES4_DF16_DF16_fDF16_DF16_NS_16tensor_operation12element_wise11PassThroughES8_S8_LNS6_6device18GemmSpecializationE4ELi64ELi32ELi32ELi256ELi8ELi8ELi16ELi16ELi2ELi1ENS_8SequenceIJLi32ELi2ELi1EEEENSB_IJLi1ELi0ELi2EEEESD_Li2ELi8ELi8ELb0ELi0ESC_SD_SD_Li2ELi8ELi8ELb0ELi0ELi1ELi1ENSB_IJLi1ELi16ELi1ELi4EEEELi4ELNS_26BlockGemmPipelineSchedulerE1ELNS_24BlockGemmPipelineVersionE1EDF16_DF16_Lb0ELb0ELb0ELi0ELb0EEELb1ELNS_25InMemoryDataOperationEnumE0ELi2ELNS_10TailNumberE10EEEvNT_8ArgumentE ; -- Begin function _ZN2ck27kernel_gemm_xdl_cshuffle_v3INS_28GridwiseGemm_xdl_cshuffle_v3INS_13tensor_layout4gemm8RowMajorENS3_11ColumnMajorES4_DF16_DF16_fDF16_DF16_NS_16tensor_operation12element_wise11PassThroughES8_S8_LNS6_6device18GemmSpecializationE4ELi64ELi32ELi32ELi256ELi8ELi8ELi16ELi16ELi2ELi1ENS_8SequenceIJLi32ELi2ELi1EEEENSB_IJLi1ELi0ELi2EEEESD_Li2ELi8ELi8ELb0ELi0ESC_SD_SD_Li2ELi8ELi8ELb0ELi0ELi1ELi1ENSB_IJLi1ELi16ELi1ELi4EEEELi4ELNS_26BlockGemmPipelineSchedulerE1ELNS_24BlockGemmPipelineVersionE1EDF16_DF16_Lb0ELb0ELb0ELi0ELb0EEELb1ELNS_25InMemoryDataOperationEnumE0ELi2ELNS_10TailNumberE10EEEvNT_8ArgumentE
	.globl	_ZN2ck27kernel_gemm_xdl_cshuffle_v3INS_28GridwiseGemm_xdl_cshuffle_v3INS_13tensor_layout4gemm8RowMajorENS3_11ColumnMajorES4_DF16_DF16_fDF16_DF16_NS_16tensor_operation12element_wise11PassThroughES8_S8_LNS6_6device18GemmSpecializationE4ELi64ELi32ELi32ELi256ELi8ELi8ELi16ELi16ELi2ELi1ENS_8SequenceIJLi32ELi2ELi1EEEENSB_IJLi1ELi0ELi2EEEESD_Li2ELi8ELi8ELb0ELi0ESC_SD_SD_Li2ELi8ELi8ELb0ELi0ELi1ELi1ENSB_IJLi1ELi16ELi1ELi4EEEELi4ELNS_26BlockGemmPipelineSchedulerE1ELNS_24BlockGemmPipelineVersionE1EDF16_DF16_Lb0ELb0ELb0ELi0ELb0EEELb1ELNS_25InMemoryDataOperationEnumE0ELi2ELNS_10TailNumberE10EEEvNT_8ArgumentE
	.p2align	8
	.type	_ZN2ck27kernel_gemm_xdl_cshuffle_v3INS_28GridwiseGemm_xdl_cshuffle_v3INS_13tensor_layout4gemm8RowMajorENS3_11ColumnMajorES4_DF16_DF16_fDF16_DF16_NS_16tensor_operation12element_wise11PassThroughES8_S8_LNS6_6device18GemmSpecializationE4ELi64ELi32ELi32ELi256ELi8ELi8ELi16ELi16ELi2ELi1ENS_8SequenceIJLi32ELi2ELi1EEEENSB_IJLi1ELi0ELi2EEEESD_Li2ELi8ELi8ELb0ELi0ESC_SD_SD_Li2ELi8ELi8ELb0ELi0ELi1ELi1ENSB_IJLi1ELi16ELi1ELi4EEEELi4ELNS_26BlockGemmPipelineSchedulerE1ELNS_24BlockGemmPipelineVersionE1EDF16_DF16_Lb0ELb0ELb0ELi0ELb0EEELb1ELNS_25InMemoryDataOperationEnumE0ELi2ELNS_10TailNumberE10EEEvNT_8ArgumentE,@function
_ZN2ck27kernel_gemm_xdl_cshuffle_v3INS_28GridwiseGemm_xdl_cshuffle_v3INS_13tensor_layout4gemm8RowMajorENS3_11ColumnMajorES4_DF16_DF16_fDF16_DF16_NS_16tensor_operation12element_wise11PassThroughES8_S8_LNS6_6device18GemmSpecializationE4ELi64ELi32ELi32ELi256ELi8ELi8ELi16ELi16ELi2ELi1ENS_8SequenceIJLi32ELi2ELi1EEEENSB_IJLi1ELi0ELi2EEEESD_Li2ELi8ELi8ELb0ELi0ESC_SD_SD_Li2ELi8ELi8ELb0ELi0ELi1ELi1ENSB_IJLi1ELi16ELi1ELi4EEEELi4ELNS_26BlockGemmPipelineSchedulerE1ELNS_24BlockGemmPipelineVersionE1EDF16_DF16_Lb0ELb0ELb0ELi0ELb0EEELb1ELNS_25InMemoryDataOperationEnumE0ELi2ELNS_10TailNumberE10EEEvNT_8ArgumentE: ; @_ZN2ck27kernel_gemm_xdl_cshuffle_v3INS_28GridwiseGemm_xdl_cshuffle_v3INS_13tensor_layout4gemm8RowMajorENS3_11ColumnMajorES4_DF16_DF16_fDF16_DF16_NS_16tensor_operation12element_wise11PassThroughES8_S8_LNS6_6device18GemmSpecializationE4ELi64ELi32ELi32ELi256ELi8ELi8ELi16ELi16ELi2ELi1ENS_8SequenceIJLi32ELi2ELi1EEEENSB_IJLi1ELi0ELi2EEEESD_Li2ELi8ELi8ELb0ELi0ESC_SD_SD_Li2ELi8ELi8ELb0ELi0ELi1ELi1ENSB_IJLi1ELi16ELi1ELi4EEEELi4ELNS_26BlockGemmPipelineSchedulerE1ELNS_24BlockGemmPipelineVersionE1EDF16_DF16_Lb0ELb0ELb0ELi0ELb0EEELb1ELNS_25InMemoryDataOperationEnumE0ELi2ELNS_10TailNumberE10EEEvNT_8ArgumentE
; %bb.0:
	s_endpgm
	.section	.rodata,"a",@progbits
	.p2align	6, 0x0
	.amdhsa_kernel _ZN2ck27kernel_gemm_xdl_cshuffle_v3INS_28GridwiseGemm_xdl_cshuffle_v3INS_13tensor_layout4gemm8RowMajorENS3_11ColumnMajorES4_DF16_DF16_fDF16_DF16_NS_16tensor_operation12element_wise11PassThroughES8_S8_LNS6_6device18GemmSpecializationE4ELi64ELi32ELi32ELi256ELi8ELi8ELi16ELi16ELi2ELi1ENS_8SequenceIJLi32ELi2ELi1EEEENSB_IJLi1ELi0ELi2EEEESD_Li2ELi8ELi8ELb0ELi0ESC_SD_SD_Li2ELi8ELi8ELb0ELi0ELi1ELi1ENSB_IJLi1ELi16ELi1ELi4EEEELi4ELNS_26BlockGemmPipelineSchedulerE1ELNS_24BlockGemmPipelineVersionE1EDF16_DF16_Lb0ELb0ELb0ELi0ELb0EEELb1ELNS_25InMemoryDataOperationEnumE0ELi2ELNS_10TailNumberE10EEEvNT_8ArgumentE
		.amdhsa_group_segment_fixed_size 0
		.amdhsa_private_segment_fixed_size 0
		.amdhsa_kernarg_size 112
		.amdhsa_user_sgpr_count 2
		.amdhsa_user_sgpr_dispatch_ptr 0
		.amdhsa_user_sgpr_queue_ptr 0
		.amdhsa_user_sgpr_kernarg_segment_ptr 1
		.amdhsa_user_sgpr_dispatch_id 0
		.amdhsa_user_sgpr_kernarg_preload_length 0
		.amdhsa_user_sgpr_kernarg_preload_offset 0
		.amdhsa_user_sgpr_private_segment_size 0
		.amdhsa_uses_dynamic_stack 0
		.amdhsa_enable_private_segment 0
		.amdhsa_system_sgpr_workgroup_id_x 1
		.amdhsa_system_sgpr_workgroup_id_y 0
		.amdhsa_system_sgpr_workgroup_id_z 0
		.amdhsa_system_sgpr_workgroup_info 0
		.amdhsa_system_vgpr_workitem_id 0
		.amdhsa_next_free_vgpr 1
		.amdhsa_next_free_sgpr 0
		.amdhsa_accum_offset 4
		.amdhsa_reserve_vcc 0
		.amdhsa_float_round_mode_32 0
		.amdhsa_float_round_mode_16_64 0
		.amdhsa_float_denorm_mode_32 3
		.amdhsa_float_denorm_mode_16_64 3
		.amdhsa_dx10_clamp 1
		.amdhsa_ieee_mode 1
		.amdhsa_fp16_overflow 0
		.amdhsa_tg_split 0
		.amdhsa_exception_fp_ieee_invalid_op 0
		.amdhsa_exception_fp_denorm_src 0
		.amdhsa_exception_fp_ieee_div_zero 0
		.amdhsa_exception_fp_ieee_overflow 0
		.amdhsa_exception_fp_ieee_underflow 0
		.amdhsa_exception_fp_ieee_inexact 0
		.amdhsa_exception_int_div_zero 0
	.end_amdhsa_kernel
	.section	.text._ZN2ck27kernel_gemm_xdl_cshuffle_v3INS_28GridwiseGemm_xdl_cshuffle_v3INS_13tensor_layout4gemm8RowMajorENS3_11ColumnMajorES4_DF16_DF16_fDF16_DF16_NS_16tensor_operation12element_wise11PassThroughES8_S8_LNS6_6device18GemmSpecializationE4ELi64ELi32ELi32ELi256ELi8ELi8ELi16ELi16ELi2ELi1ENS_8SequenceIJLi32ELi2ELi1EEEENSB_IJLi1ELi0ELi2EEEESD_Li2ELi8ELi8ELb0ELi0ESC_SD_SD_Li2ELi8ELi8ELb0ELi0ELi1ELi1ENSB_IJLi1ELi16ELi1ELi4EEEELi4ELNS_26BlockGemmPipelineSchedulerE1ELNS_24BlockGemmPipelineVersionE1EDF16_DF16_Lb0ELb0ELb0ELi0ELb0EEELb1ELNS_25InMemoryDataOperationEnumE0ELi2ELNS_10TailNumberE10EEEvNT_8ArgumentE,"axG",@progbits,_ZN2ck27kernel_gemm_xdl_cshuffle_v3INS_28GridwiseGemm_xdl_cshuffle_v3INS_13tensor_layout4gemm8RowMajorENS3_11ColumnMajorES4_DF16_DF16_fDF16_DF16_NS_16tensor_operation12element_wise11PassThroughES8_S8_LNS6_6device18GemmSpecializationE4ELi64ELi32ELi32ELi256ELi8ELi8ELi16ELi16ELi2ELi1ENS_8SequenceIJLi32ELi2ELi1EEEENSB_IJLi1ELi0ELi2EEEESD_Li2ELi8ELi8ELb0ELi0ESC_SD_SD_Li2ELi8ELi8ELb0ELi0ELi1ELi1ENSB_IJLi1ELi16ELi1ELi4EEEELi4ELNS_26BlockGemmPipelineSchedulerE1ELNS_24BlockGemmPipelineVersionE1EDF16_DF16_Lb0ELb0ELb0ELi0ELb0EEELb1ELNS_25InMemoryDataOperationEnumE0ELi2ELNS_10TailNumberE10EEEvNT_8ArgumentE,comdat
.Lfunc_end8:
	.size	_ZN2ck27kernel_gemm_xdl_cshuffle_v3INS_28GridwiseGemm_xdl_cshuffle_v3INS_13tensor_layout4gemm8RowMajorENS3_11ColumnMajorES4_DF16_DF16_fDF16_DF16_NS_16tensor_operation12element_wise11PassThroughES8_S8_LNS6_6device18GemmSpecializationE4ELi64ELi32ELi32ELi256ELi8ELi8ELi16ELi16ELi2ELi1ENS_8SequenceIJLi32ELi2ELi1EEEENSB_IJLi1ELi0ELi2EEEESD_Li2ELi8ELi8ELb0ELi0ESC_SD_SD_Li2ELi8ELi8ELb0ELi0ELi1ELi1ENSB_IJLi1ELi16ELi1ELi4EEEELi4ELNS_26BlockGemmPipelineSchedulerE1ELNS_24BlockGemmPipelineVersionE1EDF16_DF16_Lb0ELb0ELb0ELi0ELb0EEELb1ELNS_25InMemoryDataOperationEnumE0ELi2ELNS_10TailNumberE10EEEvNT_8ArgumentE, .Lfunc_end8-_ZN2ck27kernel_gemm_xdl_cshuffle_v3INS_28GridwiseGemm_xdl_cshuffle_v3INS_13tensor_layout4gemm8RowMajorENS3_11ColumnMajorES4_DF16_DF16_fDF16_DF16_NS_16tensor_operation12element_wise11PassThroughES8_S8_LNS6_6device18GemmSpecializationE4ELi64ELi32ELi32ELi256ELi8ELi8ELi16ELi16ELi2ELi1ENS_8SequenceIJLi32ELi2ELi1EEEENSB_IJLi1ELi0ELi2EEEESD_Li2ELi8ELi8ELb0ELi0ESC_SD_SD_Li2ELi8ELi8ELb0ELi0ELi1ELi1ENSB_IJLi1ELi16ELi1ELi4EEEELi4ELNS_26BlockGemmPipelineSchedulerE1ELNS_24BlockGemmPipelineVersionE1EDF16_DF16_Lb0ELb0ELb0ELi0ELb0EEELb1ELNS_25InMemoryDataOperationEnumE0ELi2ELNS_10TailNumberE10EEEvNT_8ArgumentE
                                        ; -- End function
	.set _ZN2ck27kernel_gemm_xdl_cshuffle_v3INS_28GridwiseGemm_xdl_cshuffle_v3INS_13tensor_layout4gemm8RowMajorENS3_11ColumnMajorES4_DF16_DF16_fDF16_DF16_NS_16tensor_operation12element_wise11PassThroughES8_S8_LNS6_6device18GemmSpecializationE4ELi64ELi32ELi32ELi256ELi8ELi8ELi16ELi16ELi2ELi1ENS_8SequenceIJLi32ELi2ELi1EEEENSB_IJLi1ELi0ELi2EEEESD_Li2ELi8ELi8ELb0ELi0ESC_SD_SD_Li2ELi8ELi8ELb0ELi0ELi1ELi1ENSB_IJLi1ELi16ELi1ELi4EEEELi4ELNS_26BlockGemmPipelineSchedulerE1ELNS_24BlockGemmPipelineVersionE1EDF16_DF16_Lb0ELb0ELb0ELi0ELb0EEELb1ELNS_25InMemoryDataOperationEnumE0ELi2ELNS_10TailNumberE10EEEvNT_8ArgumentE.num_vgpr, 0
	.set _ZN2ck27kernel_gemm_xdl_cshuffle_v3INS_28GridwiseGemm_xdl_cshuffle_v3INS_13tensor_layout4gemm8RowMajorENS3_11ColumnMajorES4_DF16_DF16_fDF16_DF16_NS_16tensor_operation12element_wise11PassThroughES8_S8_LNS6_6device18GemmSpecializationE4ELi64ELi32ELi32ELi256ELi8ELi8ELi16ELi16ELi2ELi1ENS_8SequenceIJLi32ELi2ELi1EEEENSB_IJLi1ELi0ELi2EEEESD_Li2ELi8ELi8ELb0ELi0ESC_SD_SD_Li2ELi8ELi8ELb0ELi0ELi1ELi1ENSB_IJLi1ELi16ELi1ELi4EEEELi4ELNS_26BlockGemmPipelineSchedulerE1ELNS_24BlockGemmPipelineVersionE1EDF16_DF16_Lb0ELb0ELb0ELi0ELb0EEELb1ELNS_25InMemoryDataOperationEnumE0ELi2ELNS_10TailNumberE10EEEvNT_8ArgumentE.num_agpr, 0
	.set _ZN2ck27kernel_gemm_xdl_cshuffle_v3INS_28GridwiseGemm_xdl_cshuffle_v3INS_13tensor_layout4gemm8RowMajorENS3_11ColumnMajorES4_DF16_DF16_fDF16_DF16_NS_16tensor_operation12element_wise11PassThroughES8_S8_LNS6_6device18GemmSpecializationE4ELi64ELi32ELi32ELi256ELi8ELi8ELi16ELi16ELi2ELi1ENS_8SequenceIJLi32ELi2ELi1EEEENSB_IJLi1ELi0ELi2EEEESD_Li2ELi8ELi8ELb0ELi0ESC_SD_SD_Li2ELi8ELi8ELb0ELi0ELi1ELi1ENSB_IJLi1ELi16ELi1ELi4EEEELi4ELNS_26BlockGemmPipelineSchedulerE1ELNS_24BlockGemmPipelineVersionE1EDF16_DF16_Lb0ELb0ELb0ELi0ELb0EEELb1ELNS_25InMemoryDataOperationEnumE0ELi2ELNS_10TailNumberE10EEEvNT_8ArgumentE.numbered_sgpr, 0
	.set _ZN2ck27kernel_gemm_xdl_cshuffle_v3INS_28GridwiseGemm_xdl_cshuffle_v3INS_13tensor_layout4gemm8RowMajorENS3_11ColumnMajorES4_DF16_DF16_fDF16_DF16_NS_16tensor_operation12element_wise11PassThroughES8_S8_LNS6_6device18GemmSpecializationE4ELi64ELi32ELi32ELi256ELi8ELi8ELi16ELi16ELi2ELi1ENS_8SequenceIJLi32ELi2ELi1EEEENSB_IJLi1ELi0ELi2EEEESD_Li2ELi8ELi8ELb0ELi0ESC_SD_SD_Li2ELi8ELi8ELb0ELi0ELi1ELi1ENSB_IJLi1ELi16ELi1ELi4EEEELi4ELNS_26BlockGemmPipelineSchedulerE1ELNS_24BlockGemmPipelineVersionE1EDF16_DF16_Lb0ELb0ELb0ELi0ELb0EEELb1ELNS_25InMemoryDataOperationEnumE0ELi2ELNS_10TailNumberE10EEEvNT_8ArgumentE.num_named_barrier, 0
	.set _ZN2ck27kernel_gemm_xdl_cshuffle_v3INS_28GridwiseGemm_xdl_cshuffle_v3INS_13tensor_layout4gemm8RowMajorENS3_11ColumnMajorES4_DF16_DF16_fDF16_DF16_NS_16tensor_operation12element_wise11PassThroughES8_S8_LNS6_6device18GemmSpecializationE4ELi64ELi32ELi32ELi256ELi8ELi8ELi16ELi16ELi2ELi1ENS_8SequenceIJLi32ELi2ELi1EEEENSB_IJLi1ELi0ELi2EEEESD_Li2ELi8ELi8ELb0ELi0ESC_SD_SD_Li2ELi8ELi8ELb0ELi0ELi1ELi1ENSB_IJLi1ELi16ELi1ELi4EEEELi4ELNS_26BlockGemmPipelineSchedulerE1ELNS_24BlockGemmPipelineVersionE1EDF16_DF16_Lb0ELb0ELb0ELi0ELb0EEELb1ELNS_25InMemoryDataOperationEnumE0ELi2ELNS_10TailNumberE10EEEvNT_8ArgumentE.private_seg_size, 0
	.set _ZN2ck27kernel_gemm_xdl_cshuffle_v3INS_28GridwiseGemm_xdl_cshuffle_v3INS_13tensor_layout4gemm8RowMajorENS3_11ColumnMajorES4_DF16_DF16_fDF16_DF16_NS_16tensor_operation12element_wise11PassThroughES8_S8_LNS6_6device18GemmSpecializationE4ELi64ELi32ELi32ELi256ELi8ELi8ELi16ELi16ELi2ELi1ENS_8SequenceIJLi32ELi2ELi1EEEENSB_IJLi1ELi0ELi2EEEESD_Li2ELi8ELi8ELb0ELi0ESC_SD_SD_Li2ELi8ELi8ELb0ELi0ELi1ELi1ENSB_IJLi1ELi16ELi1ELi4EEEELi4ELNS_26BlockGemmPipelineSchedulerE1ELNS_24BlockGemmPipelineVersionE1EDF16_DF16_Lb0ELb0ELb0ELi0ELb0EEELb1ELNS_25InMemoryDataOperationEnumE0ELi2ELNS_10TailNumberE10EEEvNT_8ArgumentE.uses_vcc, 0
	.set _ZN2ck27kernel_gemm_xdl_cshuffle_v3INS_28GridwiseGemm_xdl_cshuffle_v3INS_13tensor_layout4gemm8RowMajorENS3_11ColumnMajorES4_DF16_DF16_fDF16_DF16_NS_16tensor_operation12element_wise11PassThroughES8_S8_LNS6_6device18GemmSpecializationE4ELi64ELi32ELi32ELi256ELi8ELi8ELi16ELi16ELi2ELi1ENS_8SequenceIJLi32ELi2ELi1EEEENSB_IJLi1ELi0ELi2EEEESD_Li2ELi8ELi8ELb0ELi0ESC_SD_SD_Li2ELi8ELi8ELb0ELi0ELi1ELi1ENSB_IJLi1ELi16ELi1ELi4EEEELi4ELNS_26BlockGemmPipelineSchedulerE1ELNS_24BlockGemmPipelineVersionE1EDF16_DF16_Lb0ELb0ELb0ELi0ELb0EEELb1ELNS_25InMemoryDataOperationEnumE0ELi2ELNS_10TailNumberE10EEEvNT_8ArgumentE.uses_flat_scratch, 0
	.set _ZN2ck27kernel_gemm_xdl_cshuffle_v3INS_28GridwiseGemm_xdl_cshuffle_v3INS_13tensor_layout4gemm8RowMajorENS3_11ColumnMajorES4_DF16_DF16_fDF16_DF16_NS_16tensor_operation12element_wise11PassThroughES8_S8_LNS6_6device18GemmSpecializationE4ELi64ELi32ELi32ELi256ELi8ELi8ELi16ELi16ELi2ELi1ENS_8SequenceIJLi32ELi2ELi1EEEENSB_IJLi1ELi0ELi2EEEESD_Li2ELi8ELi8ELb0ELi0ESC_SD_SD_Li2ELi8ELi8ELb0ELi0ELi1ELi1ENSB_IJLi1ELi16ELi1ELi4EEEELi4ELNS_26BlockGemmPipelineSchedulerE1ELNS_24BlockGemmPipelineVersionE1EDF16_DF16_Lb0ELb0ELb0ELi0ELb0EEELb1ELNS_25InMemoryDataOperationEnumE0ELi2ELNS_10TailNumberE10EEEvNT_8ArgumentE.has_dyn_sized_stack, 0
	.set _ZN2ck27kernel_gemm_xdl_cshuffle_v3INS_28GridwiseGemm_xdl_cshuffle_v3INS_13tensor_layout4gemm8RowMajorENS3_11ColumnMajorES4_DF16_DF16_fDF16_DF16_NS_16tensor_operation12element_wise11PassThroughES8_S8_LNS6_6device18GemmSpecializationE4ELi64ELi32ELi32ELi256ELi8ELi8ELi16ELi16ELi2ELi1ENS_8SequenceIJLi32ELi2ELi1EEEENSB_IJLi1ELi0ELi2EEEESD_Li2ELi8ELi8ELb0ELi0ESC_SD_SD_Li2ELi8ELi8ELb0ELi0ELi1ELi1ENSB_IJLi1ELi16ELi1ELi4EEEELi4ELNS_26BlockGemmPipelineSchedulerE1ELNS_24BlockGemmPipelineVersionE1EDF16_DF16_Lb0ELb0ELb0ELi0ELb0EEELb1ELNS_25InMemoryDataOperationEnumE0ELi2ELNS_10TailNumberE10EEEvNT_8ArgumentE.has_recursion, 0
	.set _ZN2ck27kernel_gemm_xdl_cshuffle_v3INS_28GridwiseGemm_xdl_cshuffle_v3INS_13tensor_layout4gemm8RowMajorENS3_11ColumnMajorES4_DF16_DF16_fDF16_DF16_NS_16tensor_operation12element_wise11PassThroughES8_S8_LNS6_6device18GemmSpecializationE4ELi64ELi32ELi32ELi256ELi8ELi8ELi16ELi16ELi2ELi1ENS_8SequenceIJLi32ELi2ELi1EEEENSB_IJLi1ELi0ELi2EEEESD_Li2ELi8ELi8ELb0ELi0ESC_SD_SD_Li2ELi8ELi8ELb0ELi0ELi1ELi1ENSB_IJLi1ELi16ELi1ELi4EEEELi4ELNS_26BlockGemmPipelineSchedulerE1ELNS_24BlockGemmPipelineVersionE1EDF16_DF16_Lb0ELb0ELb0ELi0ELb0EEELb1ELNS_25InMemoryDataOperationEnumE0ELi2ELNS_10TailNumberE10EEEvNT_8ArgumentE.has_indirect_call, 0
	.section	.AMDGPU.csdata,"",@progbits
; Kernel info:
; codeLenInByte = 4
; TotalNumSgprs: 6
; NumVgprs: 0
; NumAgprs: 0
; TotalNumVgprs: 0
; ScratchSize: 0
; MemoryBound: 0
; FloatMode: 240
; IeeeMode: 1
; LDSByteSize: 0 bytes/workgroup (compile time only)
; SGPRBlocks: 0
; VGPRBlocks: 0
; NumSGPRsForWavesPerEU: 6
; NumVGPRsForWavesPerEU: 1
; AccumOffset: 4
; Occupancy: 8
; WaveLimiterHint : 0
; COMPUTE_PGM_RSRC2:SCRATCH_EN: 0
; COMPUTE_PGM_RSRC2:USER_SGPR: 2
; COMPUTE_PGM_RSRC2:TRAP_HANDLER: 0
; COMPUTE_PGM_RSRC2:TGID_X_EN: 1
; COMPUTE_PGM_RSRC2:TGID_Y_EN: 0
; COMPUTE_PGM_RSRC2:TGID_Z_EN: 0
; COMPUTE_PGM_RSRC2:TIDIG_COMP_CNT: 0
; COMPUTE_PGM_RSRC3_GFX90A:ACCUM_OFFSET: 0
; COMPUTE_PGM_RSRC3_GFX90A:TG_SPLIT: 0
	.section	.AMDGPU.gpr_maximums,"",@progbits
	.set amdgpu.max_num_vgpr, 0
	.set amdgpu.max_num_agpr, 0
	.set amdgpu.max_num_sgpr, 0
	.section	.AMDGPU.csdata,"",@progbits
	.type	__hip_cuid_3777aa181fe4732e,@object ; @__hip_cuid_3777aa181fe4732e
	.section	.bss,"aw",@nobits
	.globl	__hip_cuid_3777aa181fe4732e
__hip_cuid_3777aa181fe4732e:
	.byte	0                               ; 0x0
	.size	__hip_cuid_3777aa181fe4732e, 1

	.ident	"AMD clang version 22.0.0git (https://github.com/RadeonOpenCompute/llvm-project roc-7.2.4 26084 f58b06dce1f9c15707c5f808fd002e18c2accf7e)"
	.section	".note.GNU-stack","",@progbits
	.addrsig
	.addrsig_sym __hip_cuid_3777aa181fe4732e
	.amdgpu_metadata
---
amdhsa.kernels:
  - .agpr_count:     0
    .args:           []
    .group_segment_fixed_size: 0
    .kernarg_segment_align: 4
    .kernarg_segment_size: 0
    .language:       OpenCL C
    .language_version:
      - 2
      - 0
    .max_flat_workgroup_size: 1024
    .name:           _ZN2ckL12flush_icacheEv
    .private_segment_fixed_size: 0
    .sgpr_count:     6
    .sgpr_spill_count: 0
    .symbol:         _ZN2ckL12flush_icacheEv.kd
    .uniform_work_group_size: 1
    .uses_dynamic_stack: false
    .vgpr_count:     0
    .vgpr_spill_count: 0
    .wavefront_size: 64
  - .agpr_count:     0
    .args:
      - .offset:         0
        .size:           112
        .value_kind:     by_value
    .group_segment_fixed_size: 32768
    .kernarg_segment_align: 8
    .kernarg_segment_size: 112
    .language:       OpenCL C
    .language_version:
      - 2
      - 0
    .max_flat_workgroup_size: 64
    .name:           _ZN2ck27kernel_gemm_xdl_cshuffle_v3INS_28GridwiseGemm_xdl_cshuffle_v3INS_13tensor_layout4gemm8RowMajorENS3_11ColumnMajorES4_DF16_DF16_fDF16_DF16_NS_16tensor_operation12element_wise11PassThroughES8_S8_LNS6_6device18GemmSpecializationE4ELi64ELi32ELi32ELi256ELi8ELi8ELi16ELi16ELi2ELi2ENS_8SequenceIJLi32ELi2ELi1EEEENSB_IJLi1ELi0ELi2EEEESD_Li2ELi8ELi8ELb0ELi0ESC_SD_SD_Li2ELi8ELi8ELb0ELi0ELi1ELi1ENSB_IJLi1ELi16ELi1ELi4EEEELi4ELNS_26BlockGemmPipelineSchedulerE1ELNS_24BlockGemmPipelineVersionE1EDF16_DF16_Lb0ELb0ELb0ELi0ELb0EEELb1ELNS_25InMemoryDataOperationEnumE1ELi2ELNS_10TailNumberE2EEEvNT_8ArgumentE
    .private_segment_fixed_size: 492
    .sgpr_count:     101
    .sgpr_spill_count: 0
    .symbol:         _ZN2ck27kernel_gemm_xdl_cshuffle_v3INS_28GridwiseGemm_xdl_cshuffle_v3INS_13tensor_layout4gemm8RowMajorENS3_11ColumnMajorES4_DF16_DF16_fDF16_DF16_NS_16tensor_operation12element_wise11PassThroughES8_S8_LNS6_6device18GemmSpecializationE4ELi64ELi32ELi32ELi256ELi8ELi8ELi16ELi16ELi2ELi2ENS_8SequenceIJLi32ELi2ELi1EEEENSB_IJLi1ELi0ELi2EEEESD_Li2ELi8ELi8ELb0ELi0ESC_SD_SD_Li2ELi8ELi8ELb0ELi0ELi1ELi1ENSB_IJLi1ELi16ELi1ELi4EEEELi4ELNS_26BlockGemmPipelineSchedulerE1ELNS_24BlockGemmPipelineVersionE1EDF16_DF16_Lb0ELb0ELb0ELi0ELb0EEELb1ELNS_25InMemoryDataOperationEnumE1ELi2ELNS_10TailNumberE2EEEvNT_8ArgumentE.kd
    .uniform_work_group_size: 1
    .uses_dynamic_stack: false
    .vgpr_count:     256
    .vgpr_spill_count: 139
    .wavefront_size: 64
  - .agpr_count:     0
    .args:
      - .offset:         0
        .size:           112
        .value_kind:     by_value
    .group_segment_fixed_size: 32768
    .kernarg_segment_align: 8
    .kernarg_segment_size: 112
    .language:       OpenCL C
    .language_version:
      - 2
      - 0
    .max_flat_workgroup_size: 64
    .name:           _ZN2ck27kernel_gemm_xdl_cshuffle_v3INS_28GridwiseGemm_xdl_cshuffle_v3INS_13tensor_layout4gemm8RowMajorENS3_11ColumnMajorES4_DF16_DF16_fDF16_DF16_NS_16tensor_operation12element_wise11PassThroughES8_S8_LNS6_6device18GemmSpecializationE4ELi64ELi32ELi32ELi256ELi8ELi8ELi16ELi16ELi2ELi2ENS_8SequenceIJLi32ELi2ELi1EEEENSB_IJLi1ELi0ELi2EEEESD_Li2ELi8ELi8ELb0ELi0ESC_SD_SD_Li2ELi8ELi8ELb0ELi0ELi1ELi1ENSB_IJLi1ELi16ELi1ELi4EEEELi4ELNS_26BlockGemmPipelineSchedulerE1ELNS_24BlockGemmPipelineVersionE1EDF16_DF16_Lb0ELb0ELb0ELi0ELb0EEELb1ELNS_25InMemoryDataOperationEnumE1ELi2ELNS_10TailNumberE10EEEvNT_8ArgumentE
    .private_segment_fixed_size: 504
    .sgpr_count:     100
    .sgpr_spill_count: 0
    .symbol:         _ZN2ck27kernel_gemm_xdl_cshuffle_v3INS_28GridwiseGemm_xdl_cshuffle_v3INS_13tensor_layout4gemm8RowMajorENS3_11ColumnMajorES4_DF16_DF16_fDF16_DF16_NS_16tensor_operation12element_wise11PassThroughES8_S8_LNS6_6device18GemmSpecializationE4ELi64ELi32ELi32ELi256ELi8ELi8ELi16ELi16ELi2ELi2ENS_8SequenceIJLi32ELi2ELi1EEEENSB_IJLi1ELi0ELi2EEEESD_Li2ELi8ELi8ELb0ELi0ESC_SD_SD_Li2ELi8ELi8ELb0ELi0ELi1ELi1ENSB_IJLi1ELi16ELi1ELi4EEEELi4ELNS_26BlockGemmPipelineSchedulerE1ELNS_24BlockGemmPipelineVersionE1EDF16_DF16_Lb0ELb0ELb0ELi0ELb0EEELb1ELNS_25InMemoryDataOperationEnumE1ELi2ELNS_10TailNumberE10EEEvNT_8ArgumentE.kd
    .uniform_work_group_size: 1
    .uses_dynamic_stack: false
    .vgpr_count:     256
    .vgpr_spill_count: 199
    .wavefront_size: 64
  - .agpr_count:     0
    .args:
      - .offset:         0
        .size:           112
        .value_kind:     by_value
    .group_segment_fixed_size: 32768
    .kernarg_segment_align: 8
    .kernarg_segment_size: 112
    .language:       OpenCL C
    .language_version:
      - 2
      - 0
    .max_flat_workgroup_size: 64
    .name:           _ZN2ck27kernel_gemm_xdl_cshuffle_v3INS_28GridwiseGemm_xdl_cshuffle_v3INS_13tensor_layout4gemm8RowMajorENS3_11ColumnMajorES4_DF16_DF16_fDF16_DF16_NS_16tensor_operation12element_wise11PassThroughES8_S8_LNS6_6device18GemmSpecializationE4ELi64ELi32ELi32ELi256ELi8ELi8ELi16ELi16ELi2ELi2ENS_8SequenceIJLi32ELi2ELi1EEEENSB_IJLi1ELi0ELi2EEEESD_Li2ELi8ELi8ELb0ELi0ESC_SD_SD_Li2ELi8ELi8ELb0ELi0ELi1ELi1ENSB_IJLi1ELi16ELi1ELi4EEEELi4ELNS_26BlockGemmPipelineSchedulerE1ELNS_24BlockGemmPipelineVersionE1EDF16_DF16_Lb0ELb0ELb0ELi0ELb0EEELb1ELNS_25InMemoryDataOperationEnumE0ELi2ELNS_10TailNumberE2EEEvNT_8ArgumentE
    .private_segment_fixed_size: 492
    .sgpr_count:     101
    .sgpr_spill_count: 0
    .symbol:         _ZN2ck27kernel_gemm_xdl_cshuffle_v3INS_28GridwiseGemm_xdl_cshuffle_v3INS_13tensor_layout4gemm8RowMajorENS3_11ColumnMajorES4_DF16_DF16_fDF16_DF16_NS_16tensor_operation12element_wise11PassThroughES8_S8_LNS6_6device18GemmSpecializationE4ELi64ELi32ELi32ELi256ELi8ELi8ELi16ELi16ELi2ELi2ENS_8SequenceIJLi32ELi2ELi1EEEENSB_IJLi1ELi0ELi2EEEESD_Li2ELi8ELi8ELb0ELi0ESC_SD_SD_Li2ELi8ELi8ELb0ELi0ELi1ELi1ENSB_IJLi1ELi16ELi1ELi4EEEELi4ELNS_26BlockGemmPipelineSchedulerE1ELNS_24BlockGemmPipelineVersionE1EDF16_DF16_Lb0ELb0ELb0ELi0ELb0EEELb1ELNS_25InMemoryDataOperationEnumE0ELi2ELNS_10TailNumberE2EEEvNT_8ArgumentE.kd
    .uniform_work_group_size: 1
    .uses_dynamic_stack: false
    .vgpr_count:     256
    .vgpr_spill_count: 139
    .wavefront_size: 64
  - .agpr_count:     0
    .args:
      - .offset:         0
        .size:           112
        .value_kind:     by_value
    .group_segment_fixed_size: 32768
    .kernarg_segment_align: 8
    .kernarg_segment_size: 112
    .language:       OpenCL C
    .language_version:
      - 2
      - 0
    .max_flat_workgroup_size: 64
    .name:           _ZN2ck27kernel_gemm_xdl_cshuffle_v3INS_28GridwiseGemm_xdl_cshuffle_v3INS_13tensor_layout4gemm8RowMajorENS3_11ColumnMajorES4_DF16_DF16_fDF16_DF16_NS_16tensor_operation12element_wise11PassThroughES8_S8_LNS6_6device18GemmSpecializationE4ELi64ELi32ELi32ELi256ELi8ELi8ELi16ELi16ELi2ELi2ENS_8SequenceIJLi32ELi2ELi1EEEENSB_IJLi1ELi0ELi2EEEESD_Li2ELi8ELi8ELb0ELi0ESC_SD_SD_Li2ELi8ELi8ELb0ELi0ELi1ELi1ENSB_IJLi1ELi16ELi1ELi4EEEELi4ELNS_26BlockGemmPipelineSchedulerE1ELNS_24BlockGemmPipelineVersionE1EDF16_DF16_Lb0ELb0ELb0ELi0ELb0EEELb1ELNS_25InMemoryDataOperationEnumE0ELi2ELNS_10TailNumberE10EEEvNT_8ArgumentE
    .private_segment_fixed_size: 504
    .sgpr_count:     100
    .sgpr_spill_count: 0
    .symbol:         _ZN2ck27kernel_gemm_xdl_cshuffle_v3INS_28GridwiseGemm_xdl_cshuffle_v3INS_13tensor_layout4gemm8RowMajorENS3_11ColumnMajorES4_DF16_DF16_fDF16_DF16_NS_16tensor_operation12element_wise11PassThroughES8_S8_LNS6_6device18GemmSpecializationE4ELi64ELi32ELi32ELi256ELi8ELi8ELi16ELi16ELi2ELi2ENS_8SequenceIJLi32ELi2ELi1EEEENSB_IJLi1ELi0ELi2EEEESD_Li2ELi8ELi8ELb0ELi0ESC_SD_SD_Li2ELi8ELi8ELb0ELi0ELi1ELi1ENSB_IJLi1ELi16ELi1ELi4EEEELi4ELNS_26BlockGemmPipelineSchedulerE1ELNS_24BlockGemmPipelineVersionE1EDF16_DF16_Lb0ELb0ELb0ELi0ELb0EEELb1ELNS_25InMemoryDataOperationEnumE0ELi2ELNS_10TailNumberE10EEEvNT_8ArgumentE.kd
    .uniform_work_group_size: 1
    .uses_dynamic_stack: false
    .vgpr_count:     256
    .vgpr_spill_count: 199
    .wavefront_size: 64
  - .agpr_count:     0
    .args:
      - .offset:         0
        .size:           112
        .value_kind:     by_value
    .group_segment_fixed_size: 0
    .kernarg_segment_align: 8
    .kernarg_segment_size: 112
    .language:       OpenCL C
    .language_version:
      - 2
      - 0
    .max_flat_workgroup_size: 64
    .name:           _ZN2ck27kernel_gemm_xdl_cshuffle_v3INS_28GridwiseGemm_xdl_cshuffle_v3INS_13tensor_layout4gemm8RowMajorENS3_11ColumnMajorES4_DF16_DF16_fDF16_DF16_NS_16tensor_operation12element_wise11PassThroughES8_S8_LNS6_6device18GemmSpecializationE4ELi64ELi32ELi32ELi256ELi8ELi8ELi16ELi16ELi2ELi1ENS_8SequenceIJLi32ELi2ELi1EEEENSB_IJLi1ELi0ELi2EEEESD_Li2ELi8ELi8ELb0ELi0ESC_SD_SD_Li2ELi8ELi8ELb0ELi0ELi1ELi1ENSB_IJLi1ELi16ELi1ELi4EEEELi4ELNS_26BlockGemmPipelineSchedulerE1ELNS_24BlockGemmPipelineVersionE1EDF16_DF16_Lb0ELb0ELb0ELi0ELb0EEELb1ELNS_25InMemoryDataOperationEnumE1ELi2ELNS_10TailNumberE2EEEvNT_8ArgumentE
    .private_segment_fixed_size: 0
    .sgpr_count:     6
    .sgpr_spill_count: 0
    .symbol:         _ZN2ck27kernel_gemm_xdl_cshuffle_v3INS_28GridwiseGemm_xdl_cshuffle_v3INS_13tensor_layout4gemm8RowMajorENS3_11ColumnMajorES4_DF16_DF16_fDF16_DF16_NS_16tensor_operation12element_wise11PassThroughES8_S8_LNS6_6device18GemmSpecializationE4ELi64ELi32ELi32ELi256ELi8ELi8ELi16ELi16ELi2ELi1ENS_8SequenceIJLi32ELi2ELi1EEEENSB_IJLi1ELi0ELi2EEEESD_Li2ELi8ELi8ELb0ELi0ESC_SD_SD_Li2ELi8ELi8ELb0ELi0ELi1ELi1ENSB_IJLi1ELi16ELi1ELi4EEEELi4ELNS_26BlockGemmPipelineSchedulerE1ELNS_24BlockGemmPipelineVersionE1EDF16_DF16_Lb0ELb0ELb0ELi0ELb0EEELb1ELNS_25InMemoryDataOperationEnumE1ELi2ELNS_10TailNumberE2EEEvNT_8ArgumentE.kd
    .uniform_work_group_size: 1
    .uses_dynamic_stack: false
    .vgpr_count:     0
    .vgpr_spill_count: 0
    .wavefront_size: 64
  - .agpr_count:     0
    .args:
      - .offset:         0
        .size:           112
        .value_kind:     by_value
    .group_segment_fixed_size: 0
    .kernarg_segment_align: 8
    .kernarg_segment_size: 112
    .language:       OpenCL C
    .language_version:
      - 2
      - 0
    .max_flat_workgroup_size: 64
    .name:           _ZN2ck27kernel_gemm_xdl_cshuffle_v3INS_28GridwiseGemm_xdl_cshuffle_v3INS_13tensor_layout4gemm8RowMajorENS3_11ColumnMajorES4_DF16_DF16_fDF16_DF16_NS_16tensor_operation12element_wise11PassThroughES8_S8_LNS6_6device18GemmSpecializationE4ELi64ELi32ELi32ELi256ELi8ELi8ELi16ELi16ELi2ELi1ENS_8SequenceIJLi32ELi2ELi1EEEENSB_IJLi1ELi0ELi2EEEESD_Li2ELi8ELi8ELb0ELi0ESC_SD_SD_Li2ELi8ELi8ELb0ELi0ELi1ELi1ENSB_IJLi1ELi16ELi1ELi4EEEELi4ELNS_26BlockGemmPipelineSchedulerE1ELNS_24BlockGemmPipelineVersionE1EDF16_DF16_Lb0ELb0ELb0ELi0ELb0EEELb1ELNS_25InMemoryDataOperationEnumE1ELi2ELNS_10TailNumberE10EEEvNT_8ArgumentE
    .private_segment_fixed_size: 0
    .sgpr_count:     6
    .sgpr_spill_count: 0
    .symbol:         _ZN2ck27kernel_gemm_xdl_cshuffle_v3INS_28GridwiseGemm_xdl_cshuffle_v3INS_13tensor_layout4gemm8RowMajorENS3_11ColumnMajorES4_DF16_DF16_fDF16_DF16_NS_16tensor_operation12element_wise11PassThroughES8_S8_LNS6_6device18GemmSpecializationE4ELi64ELi32ELi32ELi256ELi8ELi8ELi16ELi16ELi2ELi1ENS_8SequenceIJLi32ELi2ELi1EEEENSB_IJLi1ELi0ELi2EEEESD_Li2ELi8ELi8ELb0ELi0ESC_SD_SD_Li2ELi8ELi8ELb0ELi0ELi1ELi1ENSB_IJLi1ELi16ELi1ELi4EEEELi4ELNS_26BlockGemmPipelineSchedulerE1ELNS_24BlockGemmPipelineVersionE1EDF16_DF16_Lb0ELb0ELb0ELi0ELb0EEELb1ELNS_25InMemoryDataOperationEnumE1ELi2ELNS_10TailNumberE10EEEvNT_8ArgumentE.kd
    .uniform_work_group_size: 1
    .uses_dynamic_stack: false
    .vgpr_count:     0
    .vgpr_spill_count: 0
    .wavefront_size: 64
  - .agpr_count:     0
    .args:
      - .offset:         0
        .size:           112
        .value_kind:     by_value
    .group_segment_fixed_size: 0
    .kernarg_segment_align: 8
    .kernarg_segment_size: 112
    .language:       OpenCL C
    .language_version:
      - 2
      - 0
    .max_flat_workgroup_size: 64
    .name:           _ZN2ck27kernel_gemm_xdl_cshuffle_v3INS_28GridwiseGemm_xdl_cshuffle_v3INS_13tensor_layout4gemm8RowMajorENS3_11ColumnMajorES4_DF16_DF16_fDF16_DF16_NS_16tensor_operation12element_wise11PassThroughES8_S8_LNS6_6device18GemmSpecializationE4ELi64ELi32ELi32ELi256ELi8ELi8ELi16ELi16ELi2ELi1ENS_8SequenceIJLi32ELi2ELi1EEEENSB_IJLi1ELi0ELi2EEEESD_Li2ELi8ELi8ELb0ELi0ESC_SD_SD_Li2ELi8ELi8ELb0ELi0ELi1ELi1ENSB_IJLi1ELi16ELi1ELi4EEEELi4ELNS_26BlockGemmPipelineSchedulerE1ELNS_24BlockGemmPipelineVersionE1EDF16_DF16_Lb0ELb0ELb0ELi0ELb0EEELb1ELNS_25InMemoryDataOperationEnumE0ELi2ELNS_10TailNumberE2EEEvNT_8ArgumentE
    .private_segment_fixed_size: 0
    .sgpr_count:     6
    .sgpr_spill_count: 0
    .symbol:         _ZN2ck27kernel_gemm_xdl_cshuffle_v3INS_28GridwiseGemm_xdl_cshuffle_v3INS_13tensor_layout4gemm8RowMajorENS3_11ColumnMajorES4_DF16_DF16_fDF16_DF16_NS_16tensor_operation12element_wise11PassThroughES8_S8_LNS6_6device18GemmSpecializationE4ELi64ELi32ELi32ELi256ELi8ELi8ELi16ELi16ELi2ELi1ENS_8SequenceIJLi32ELi2ELi1EEEENSB_IJLi1ELi0ELi2EEEESD_Li2ELi8ELi8ELb0ELi0ESC_SD_SD_Li2ELi8ELi8ELb0ELi0ELi1ELi1ENSB_IJLi1ELi16ELi1ELi4EEEELi4ELNS_26BlockGemmPipelineSchedulerE1ELNS_24BlockGemmPipelineVersionE1EDF16_DF16_Lb0ELb0ELb0ELi0ELb0EEELb1ELNS_25InMemoryDataOperationEnumE0ELi2ELNS_10TailNumberE2EEEvNT_8ArgumentE.kd
    .uniform_work_group_size: 1
    .uses_dynamic_stack: false
    .vgpr_count:     0
    .vgpr_spill_count: 0
    .wavefront_size: 64
  - .agpr_count:     0
    .args:
      - .offset:         0
        .size:           112
        .value_kind:     by_value
    .group_segment_fixed_size: 0
    .kernarg_segment_align: 8
    .kernarg_segment_size: 112
    .language:       OpenCL C
    .language_version:
      - 2
      - 0
    .max_flat_workgroup_size: 64
    .name:           _ZN2ck27kernel_gemm_xdl_cshuffle_v3INS_28GridwiseGemm_xdl_cshuffle_v3INS_13tensor_layout4gemm8RowMajorENS3_11ColumnMajorES4_DF16_DF16_fDF16_DF16_NS_16tensor_operation12element_wise11PassThroughES8_S8_LNS6_6device18GemmSpecializationE4ELi64ELi32ELi32ELi256ELi8ELi8ELi16ELi16ELi2ELi1ENS_8SequenceIJLi32ELi2ELi1EEEENSB_IJLi1ELi0ELi2EEEESD_Li2ELi8ELi8ELb0ELi0ESC_SD_SD_Li2ELi8ELi8ELb0ELi0ELi1ELi1ENSB_IJLi1ELi16ELi1ELi4EEEELi4ELNS_26BlockGemmPipelineSchedulerE1ELNS_24BlockGemmPipelineVersionE1EDF16_DF16_Lb0ELb0ELb0ELi0ELb0EEELb1ELNS_25InMemoryDataOperationEnumE0ELi2ELNS_10TailNumberE10EEEvNT_8ArgumentE
    .private_segment_fixed_size: 0
    .sgpr_count:     6
    .sgpr_spill_count: 0
    .symbol:         _ZN2ck27kernel_gemm_xdl_cshuffle_v3INS_28GridwiseGemm_xdl_cshuffle_v3INS_13tensor_layout4gemm8RowMajorENS3_11ColumnMajorES4_DF16_DF16_fDF16_DF16_NS_16tensor_operation12element_wise11PassThroughES8_S8_LNS6_6device18GemmSpecializationE4ELi64ELi32ELi32ELi256ELi8ELi8ELi16ELi16ELi2ELi1ENS_8SequenceIJLi32ELi2ELi1EEEENSB_IJLi1ELi0ELi2EEEESD_Li2ELi8ELi8ELb0ELi0ESC_SD_SD_Li2ELi8ELi8ELb0ELi0ELi1ELi1ENSB_IJLi1ELi16ELi1ELi4EEEELi4ELNS_26BlockGemmPipelineSchedulerE1ELNS_24BlockGemmPipelineVersionE1EDF16_DF16_Lb0ELb0ELb0ELi0ELb0EEELb1ELNS_25InMemoryDataOperationEnumE0ELi2ELNS_10TailNumberE10EEEvNT_8ArgumentE.kd
    .uniform_work_group_size: 1
    .uses_dynamic_stack: false
    .vgpr_count:     0
    .vgpr_spill_count: 0
    .wavefront_size: 64
amdhsa.target:   amdgcn-amd-amdhsa--gfx950
amdhsa.version:
  - 1
  - 2
...

	.end_amdgpu_metadata
